;; amdgpu-corpus repo=ROCm/aiter kind=harvested arch=n/a opt=n/a

/root/src/amdgpu-assembly/repos/ROCm__aiter/hsa/gfx950/fmoe/gelu/fmoe_bf16_blockscaleBf16_g1u1_ps_gelu_32x128.co:	file format elf64-amdgpu

Disassembly of section .text:

0000000000002e00 <_ZN5aiter47fmoe_bf16_blockscaleBf16_g1u1_vs_ps_gelu_32x128E>:
	v_lshrrev_b32_e32 v1, 10, v0                               // 000000002E00: 2002008A
	v_lshrrev_b32_e32 v2, 10, v1                               // 000000002E04: 2004028A
	v_and_b32_e32 v2, 0x3ff, v2                                // 000000002E08: 260404FF 000003FF
	v_and_b32_e32 v1, 0x3ff, v1                                // 000000002E10: 260202FF 000003FF
	v_and_b32_e32 v0, 0x3ff, v0                                // 000000002E18: 260000FF 000003FF
	v_lshrrev_b32_e32 v3, 6, v0                                // 000000002E20: 20060086
	v_and_b32_e32 v0, 63, v0                                   // 000000002E24: 260000BF
	s_mov_b32 s2, s2                                           // 000000002E28: BE820002
	s_mov_b32 s3, s3                                           // 000000002E2C: BE830003
	s_mov_b32 s4, s4                                           // 000000002E30: BE840004
	s_mov_b32 s99, s2                                          // 000000002E34: BEE30002
	v_readfirstlane_b32 s7, v3                                 // 000000002E38: 7E0E0503
	s_and_b32 s1, s1, 0xffff                                   // 000000002E3C: 8601FF01 0000FFFF
	s_mov_b32 s96, 0                                           // 000000002E44: BEE00080
	s_mov_b32 s97, 0                                           // 000000002E48: BEE10080
	s_mov_b32 s100, 0                                          // 000000002E4C: BEE40080
	s_load_dword s96, s[0:1], 0x1a0                            // 000000002E50: C0021800 000001A0
	s_load_dword s97, s[0:1], 0x1b0                            // 000000002E58: C0021840 000001B0
	s_waitcnt lgkmcnt(0)                                       // 000000002E60: BF8CC07F
	s_cmp_eq_u32 s96, 0                                        // 000000002E64: BF068060
	s_cbranch_scc1 label_005C                                  // 000000002E68: BF850041
	v_cvt_f32_u32_e32 v44, s97                                 // 000000002E6C: 7E580C61
	s_sub_i32 s60, 0, s97                                      // 000000002E70: 81BC6180
	v_rcp_iflag_f32_e32 v44, v44                               // 000000002E74: 7E58472C
	s_nop 0                                                    // 000000002E78: BF800000
	v_mul_f32_e32 v44, 0x4f7ffffe, v44                         // 000000002E7C: 0A5858FF 4F7FFFFE
	v_cvt_u32_f32_e32 v44, v44                                 // 000000002E84: 7E580F2C
	v_mul_lo_u32 v45, s60, v44                                 // 000000002E88: D285002D 0002583C
	v_mul_hi_u32 v45, v44, v45                                 // 000000002E90: D286002D 00025B2C
	v_add_u32_e32 v44, v44, v45                                // 000000002E98: 68585B2C
	v_mul_hi_u32 v44, s96, v44                                 // 000000002E9C: D286002C 00025860
	v_mul_lo_u32 v45, v44, s97                                 // 000000002EA4: D285002D 0000C32C
	v_sub_u32_e32 v47, s96, v45                                // 000000002EAC: 6A5E5A60
	v_add_u32_e32 v46, 1, v44                                  // 000000002EB0: 685C5881
	v_cmp_le_u32_e32 vcc, s97, v47                             // 000000002EB4: 7D965E61
	v_subrev_u32_e32 v45, s97, v47                             // 000000002EB8: 6C5A5E61
	s_nop 0                                                    // 000000002EBC: BF800000
	v_cndmask_b32_e32 v44, v44, v46, vcc                       // 000000002EC0: 00585D2C
	v_cndmask_b32_e32 v47, v47, v45, vcc                       // 000000002EC4: 005E5B2F
	v_add_u32_e32 v45, 1, v44                                  // 000000002EC8: 685A5881
	v_cmp_le_u32_e32 vcc, s97, v47                             // 000000002ECC: 7D965E61
	s_nop 1                                                    // 000000002ED0: BF800001
	v_cndmask_b32_e32 v47, v44, v45, vcc                       // 000000002ED4: 005E5B2C
	s_nop 3                                                    // 000000002ED8: BF800003
	v_readfirstlane_b32 s98, v47                               // 000000002EDC: 7EC4052F
	s_nop 3                                                    // 000000002EE0: BF800003

0000000000002ee4 <label_0039>:
	s_mov_b32 s4, 1                                            // 000000002EE4: BE840081
	v_cvt_f32_u32_e32 v44, s97                                 // 000000002EE8: 7E580C61
	s_sub_i32 s60, 0, s97                                      // 000000002EEC: 81BC6180
	v_rcp_iflag_f32_e32 v44, v44                               // 000000002EF0: 7E58472C
	s_nop 0                                                    // 000000002EF4: BF800000
	v_mul_f32_e32 v44, 0x4f7ffffe, v44                         // 000000002EF8: 0A5858FF 4F7FFFFE
	v_cvt_u32_f32_e32 v44, v44                                 // 000000002F00: 7E580F2C
	v_mul_lo_u32 v45, s60, v44                                 // 000000002F04: D285002D 0002583C
	v_mul_hi_u32 v45, v44, v45                                 // 000000002F0C: D286002D 00025B2C
	v_add_u32_e32 v44, v44, v45                                // 000000002F14: 68585B2C
	v_mul_hi_u32 v44, s99, v44                                 // 000000002F18: D286002C 00025863
	v_mul_lo_u32 v45, v44, s97                                 // 000000002F20: D285002D 0000C32C
	v_sub_u32_e32 v47, s99, v45                                // 000000002F28: 6A5E5A63
	v_add_u32_e32 v46, 1, v44                                  // 000000002F2C: 685C5881
	v_cmp_le_u32_e32 vcc, s97, v47                             // 000000002F30: 7D965E61
	v_subrev_u32_e32 v45, s97, v47                             // 000000002F34: 6C5A5E61
	s_nop 0                                                    // 000000002F38: BF800000
	v_cndmask_b32_e32 v44, v44, v46, vcc                       // 000000002F3C: 00585D2C
	v_cndmask_b32_e32 v47, v47, v45, vcc                       // 000000002F40: 005E5B2F
	v_add_u32_e32 v45, 1, v44                                  // 000000002F44: 685A5881
	v_cmp_le_u32_e32 vcc, s97, v47                             // 000000002F48: 7D965E61
	s_nop 1                                                    // 000000002F4C: BF800001
	v_cndmask_b32_e32 v47, v44, v45, vcc                       // 000000002F50: 005E5B2C
	s_nop 3                                                    // 000000002F54: BF800003
	v_readfirstlane_b32 s3, v47                                // 000000002F58: 7E06052F
	s_nop 3                                                    // 000000002F5C: BF800003
	s_mul_i32 s60, s3, s97                                     // 000000002F60: 923C6103
	s_sub_u32 s2, s99, s60                                     // 000000002F64: 80823C63
	s_mul_i32 s60, s98, s100                                   // 000000002F68: 923C6462
	s_add_i32 s3, s3, s60                                      // 000000002F6C: 81033C03

0000000000002f70 <label_005C>:
	s_and_b32 s1, s1, 0xffff                                   // 000000002F70: 8601FF01 0000FFFF
	s_load_dwordx2 s[8:9], s[0:1], 0x0                         // 000000002F78: C0060200 00000000
	s_load_dwordx2 s[20:21], s[0:1], 0x10                      // 000000002F80: C0060500 00000010
	s_load_dwordx2 s[24:25], s[0:1], 0x20                      // 000000002F88: C0060600 00000020
	s_load_dwordx2 s[50:51], s[0:1], 0x30                      // 000000002F90: C0060C80 00000030
	s_load_dwordx2 s[12:13], s[0:1], 0x40                      // 000000002F98: C0060300 00000040
	s_load_dwordx2 s[28:29], s[0:1], 0x50                      // 000000002FA0: C0060700 00000050
	s_load_dwordx2 s[32:33], s[0:1], 0x60                      // 000000002FA8: C0060800 00000060
	s_load_dwordx2 s[16:17], s[0:1], 0x70                      // 000000002FB0: C0060400 00000070
	s_load_dwordx2 s[36:37], s[0:1], 0x80                      // 000000002FB8: C0060900 00000080
	s_load_dwordx2 s[44:45], s[0:1], 0x90                      // 000000002FC0: C0060B00 00000090
	s_load_dwordx2 s[40:41], s[0:1], 0xa0                      // 000000002FC8: C0060A00 000000A0
	s_load_dwordx2 s[46:47], s[0:1], 0xb0                      // 000000002FD0: C0060B80 000000B0
	s_load_dword s64, s[0:1], 0xc0                             // 000000002FD8: C0021000 000000C0
	s_load_dword s65, s[0:1], 0xd0                             // 000000002FE0: C0021040 000000D0
	s_load_dword s67, s[0:1], 0xf0                             // 000000002FE8: C00210C0 000000F0
	s_load_dword s68, s[0:1], 0x100                            // 000000002FF0: C0021100 00000100
	s_load_dword s69, s[0:1], 0x110                            // 000000002FF8: C0021140 00000110
	s_load_dword s70, s[0:1], 0x120                            // 000000003000: C0021180 00000120
	s_load_dword s71, s[0:1], 0x130                            // 000000003008: C00211C0 00000130
	s_load_dword s72, s[0:1], 0x140                            // 000000003010: C0021200 00000140
	s_load_dword s73, s[0:1], 0x150                            // 000000003018: C0021240 00000150
	s_load_dword s74, s[0:1], 0x160                            // 000000003020: C0021280 00000160
	s_load_dword s75, s[0:1], 0x170                            // 000000003028: C00212C0 00000170
	s_load_dword s76, s[0:1], 0x180                            // 000000003030: C0021300 00000180
	s_mov_b32 s2, s2                                           // 000000003038: BE820002
	s_mov_b32 s3, s3                                           // 00000000303C: BE830003
	s_mov_b32 s4, s4                                           // 000000003040: BE840004
	s_waitcnt lgkmcnt(0)                                       // 000000003044: BF8CC07F
	s_and_b32 s51, s51, 0xffff                                 // 000000003048: 8633FF33 0000FFFF
	s_load_dword s66, s[50:51], 0x4                            // 000000003050: C0021099 00000004
	s_load_dword s50, s[50:51], 0x0                            // 000000003058: C0020C99 00000000
	s_waitcnt lgkmcnt(0)                                       // 000000003060: BF8CC07F
	s_and_b32 s45, s45, 0xffff                                 // 000000003064: 862DFF2D 0000FFFF
	s_and_b32 s47, s47, 0xffff                                 // 00000000306C: 862FFF2F 0000FFFF
	s_and_b32 s9, s9, 0xffff                                   // 000000003074: 8609FF09 0000FFFF
	s_mul_i32 s60, s66, s68                                    // 00000000307C: 923C4442
	s_mul_i32 s61, s66, 4                                      // 000000003080: 923D8442
	s_mov_b32 s22, s60                                         // 000000003084: BE96003C
	s_mov_b32 s26, -16                                         // 000000003088: BE9A00D0
	s_mov_b32 s14, -16                                         // 00000000308C: BE8E00D0
	s_mov_b32 s42, -16                                         // 000000003090: BEAA00D0
	s_mov_b32 s30, -16                                         // 000000003094: BE9E00D0
	s_mov_b32 s34, -16                                         // 000000003098: BEA200D0
	s_mov_b32 s38, -16                                         // 00000000309C: BEA600D0
	s_mov_b32 s18, -16                                         // 0000000030A0: BE9200D0
	s_mul_i32 s60, s66, s71                                    // 0000000030A4: 923C4742
	s_mov_b32 s10, s60                                         // 0000000030A8: BE8A003C
	s_mov_b32 s23, 0x20000                                     // 0000000030AC: BE9700FF 00020000
	s_mov_b32 s27, 0x20000                                     // 0000000030B4: BE9B00FF 00020000
	s_mov_b32 s15, 0x20000                                     // 0000000030BC: BE8F00FF 00020000
	s_mov_b32 s43, 0x20000                                     // 0000000030C4: BEAB00FF 00020000
	s_mov_b32 s31, 0x20000                                     // 0000000030CC: BE9F00FF 00020000
	s_mov_b32 s35, 0x20000                                     // 0000000030D4: BEA300FF 00020000
	s_mov_b32 s39, 0x20000                                     // 0000000030DC: BEA700FF 00020000
	s_mov_b32 s19, 0x20000                                     // 0000000030E4: BE9300FF 00020000
	s_mov_b32 s11, 0x20000                                     // 0000000030EC: BE8B00FF 00020000
	s_and_b32 s21, s21, 0xffff                                 // 0000000030F4: 8615FF15 0000FFFF
	s_and_b32 s25, s25, 0xffff                                 // 0000000030FC: 8619FF19 0000FFFF
	s_and_b32 s13, s13, 0xffff                                 // 000000003104: 860DFF0D 0000FFFF
	s_and_b32 s41, s41, 0xffff                                 // 00000000310C: 8629FF29 0000FFFF
	s_and_b32 s29, s29, 0xffff                                 // 000000003114: 861DFF1D 0000FFFF
	s_and_b32 s33, s33, 0xffff                                 // 00000000311C: 8621FF21 0000FFFF
	s_and_b32 s37, s37, 0xffff                                 // 000000003124: 8625FF25 0000FFFF
	s_and_b32 s17, s17, 0xffff                                 // 00000000312C: 8611FF11 0000FFFF
	s_or_b32 s21, s21, 0x40000                                 // 000000003134: 8715FF15 00040000
	s_or_b32 s25, s25, 0x40000                                 // 00000000313C: 8719FF19 00040000
	s_or_b32 s13, s13, 0x40000                                 // 000000003144: 870DFF0D 00040000
	s_or_b32 s41, s41, 0x40000                                 // 00000000314C: 8729FF29 00040000
	s_or_b32 s29, s29, 0x40000                                 // 000000003154: 871DFF1D 00040000
	s_or_b32 s33, s33, 0x40000                                 // 00000000315C: 8721FF21 00040000
	s_or_b32 s37, s37, 0x40000                                 // 000000003164: 8725FF25 00040000
	s_or_b32 s17, s17, 0x40000                                 // 00000000316C: 8711FF11 00040000
	v_accvgpr_write_b32 a63, 0                                 // 000000003174: D3D9403F 18000080
	v_mov_b32_e32 v191, 0                                      // 00000000317C: 7F7E0280
	s_waitcnt lgkmcnt(0)                                       // 000000003180: BF8CC07F
	s_mul_i32 s60, s3, 32                                      // 000000003184: 923CA003
	s_cmp_lt_i32 s60, s50                                      // 000000003188: BF04323C
	s_cbranch_scc0 label_1562                                  // 00000000318C: BF84147E
	s_lshr_b32 s60, s7, 1                                      // 000000003190: 8F3C8107
	s_lshl_b32 s60, s60, 3                                     // 000000003194: 8E3C833C
	s_and_b32 s61, s7, 1                                       // 000000003198: 863D8107
	s_lshl_b32 s61, s61, 1                                     // 00000000319C: 8E3D813D
	s_or_b32 s60, s60, s61                                     // 0000000031A0: 873C3D3C
	v_lshrrev_b32_e32 v44, 3, v0                               // 0000000031A4: 20580083
	v_and_b32_e32 v45, 2, v44                                  // 0000000031A8: 265A5882
	v_lshlrev_b32_e32 v45, 1, v45                              // 0000000031AC: 245A5A81
	v_and_b32_e32 v46, 1, v44                                  // 0000000031B0: 265C5881
	v_or_b32_e32 v45, v45, v46                                 // 0000000031B4: 285A5D2D
	v_add_u32_e32 v45, s60, v45                                // 0000000031B8: 685A5A3C
	v_and_b32_e32 v46, 3, v0                                   // 0000000031BC: 265C0083
	v_lshlrev_b32_e32 v46, 4, v46                              // 0000000031C0: 245C5C84
	v_add_u32_e32 v45, v45, v46                                // 0000000031C4: 685A5D2D
	v_lshrrev_b32_e32 v44, 5, v0                               // 0000000031C8: 20580085
	v_lshlrev_b32_e32 v44, 8, v44                              // 0000000031CC: 24585888
	v_lshlrev_b32_e32 v45, 2, v45                              // 0000000031D0: 245A5A82
	v_add_u32_e32 v31, v44, v45                                // 0000000031D4: 683E5B2C
	s_mov_b32 s80, 0                                           // 0000000031D8: BED00080
	s_mov_b32 s81, s64                                         // 0000000031DC: BED10040
	s_mul_i32 s60, s3, 4                                       // 0000000031E0: 923C8403
	s_add_u32 s46, s60, s46                                    // 0000000031E4: 802E2E3C
	s_addc_u32 s47, 0, s47                                     // 0000000031E8: 822F2F80
	s_load_dword s5, s[46:47], 0x0                             // 0000000031EC: C0020157 00000000
	s_mul_i32 s60, s3, 32                                      // 0000000031F4: 923CA003
	s_mul_i32 s60, 4, s60                                      // 0000000031F8: 923C3C84
	v_and_b32_e32 v44, 15, v0                                  // 0000000031FC: 2658008F
	v_lshlrev_b32_e32 v44, 2, v44                              // 000000003200: 24585882
	v_add_u32_e32 v44, s60, v44                                // 000000003204: 6858583C
	v_mov_b32_e32 v45, 0                                       // 000000003208: 7E5A0280
	global_load_dword v7, v44, s[44:45]                        // 00000000320C: DC508000 072C002C
	v_add_u32_e32 v44, 64, v44                                 // 000000003214: 685858C0
	global_load_dword v8, v44, s[44:45]                        // 000000003218: DC508000 082C002C
	s_mul_i32 s60, s3, 32                                      // 000000003220: 923CA003
	s_lshr_b32 s61, s7, 1                                      // 000000003224: 8F3D8107
	s_mul_i32 s61, s61, 8                                      // 000000003228: 923D883D
	s_add_u32 s60, s61, s60                                    // 00000000322C: 803C3C3D
	s_and_b32 s61, s7, 1                                       // 000000003230: 863D8107
	s_mul_i32 s61, s61, 2                                      // 000000003234: 923D823D
	s_add_u32 s60, s61, s60                                    // 000000003238: 803C3C3D
	s_mul_i32 s60, 4, s60                                      // 00000000323C: 923C3C84
	s_add_u32 s44, s60, s44                                    // 000000003240: 802C2C3C
	s_addc_u32 s45, 0, s45                                     // 000000003244: 822D2D80
	s_load_dword s82, s[44:45], 0x0                            // 000000003248: C0021496 00000000
	s_load_dword s83, s[44:45], 0x4                            // 000000003250: C00214D6 00000004
	s_load_dword s84, s[44:45], 0x10                           // 000000003258: C0021516 00000010
	s_load_dword s85, s[44:45], 0x14                           // 000000003260: C0021556 00000014
	s_load_dword s86, s[44:45], 0x40                           // 000000003268: C0021596 00000040
	s_load_dword s87, s[44:45], 0x44                           // 000000003270: C00215D6 00000044
	s_load_dword s88, s[44:45], 0x50                           // 000000003278: C0021616 00000050
	s_load_dword s89, s[44:45], 0x54                           // 000000003280: C0021656 00000054
	s_waitcnt lgkmcnt(0)                                       // 000000003288: BF8CC07F
	s_and_b32 s82, s82, 0xffffff                               // 00000000328C: 8652FF52 00FFFFFF
	s_mul_i32 s62, s82, s68                                    // 000000003294: 923E4452
	s_lshl_b32 s60, 0xff, 0                                    // 000000003298: 8E3C80FF 000000FF
	s_mov_b32 s61, 0                                           // 0000000032A0: BEBD0080
	s_mov_b64 exec, s[60:61]                                   // 0000000032A4: BEFE013C
	v_mov_b32_e32 v32, s62                                     // 0000000032A8: 7E40023E
	s_and_b32 s83, s83, 0xffffff                               // 0000000032AC: 8653FF53 00FFFFFF
	s_mul_i32 s62, s83, s68                                    // 0000000032B4: 923E4453
	s_lshl_b32 s60, 0xff, 8                                    // 0000000032B8: 8E3C88FF 000000FF
	s_mov_b64 exec, s[60:61]                                   // 0000000032C0: BEFE013C
	v_mov_b32_e32 v32, s62                                     // 0000000032C4: 7E40023E
	s_and_b32 s84, s84, 0xffffff                               // 0000000032C8: 8654FF54 00FFFFFF
	s_mul_i32 s62, s84, s68                                    // 0000000032D0: 923E4454
	s_lshl_b32 s60, 0xff, 16                                   // 0000000032D4: 8E3C90FF 000000FF
	s_mov_b64 exec, s[60:61]                                   // 0000000032DC: BEFE013C
	v_mov_b32_e32 v32, s62                                     // 0000000032E0: 7E40023E
	s_and_b32 s85, s85, 0xffffff                               // 0000000032E4: 8655FF55 00FFFFFF
	s_mul_i32 s62, s85, s68                                    // 0000000032EC: 923E4455
	s_lshl_b32 s60, 0xff, 24                                   // 0000000032F0: 8E3C98FF 000000FF
	s_mov_b64 exec, s[60:61]                                   // 0000000032F8: BEFE013C
	v_mov_b32_e32 v32, s62                                     // 0000000032FC: 7E40023E
	s_and_b32 s86, s86, 0xffffff                               // 000000003300: 8656FF56 00FFFFFF
	s_mul_i32 s62, s86, s68                                    // 000000003308: 923E4456
	s_lshl_b32 s61, 0xff, 0                                    // 00000000330C: 8E3D80FF 000000FF
	s_mov_b32 s60, 0                                           // 000000003314: BEBC0080
	s_mov_b64 exec, s[60:61]                                   // 000000003318: BEFE013C
	v_mov_b32_e32 v32, s62                                     // 00000000331C: 7E40023E
	s_and_b32 s87, s87, 0xffffff                               // 000000003320: 8657FF57 00FFFFFF
	s_mul_i32 s62, s87, s68                                    // 000000003328: 923E4457
	s_lshl_b32 s61, 0xff, 8                                    // 00000000332C: 8E3D88FF 000000FF
	s_mov_b64 exec, s[60:61]                                   // 000000003334: BEFE013C
	v_mov_b32_e32 v32, s62                                     // 000000003338: 7E40023E
	s_and_b32 s88, s88, 0xffffff                               // 00000000333C: 8658FF58 00FFFFFF
	s_mul_i32 s62, s88, s68                                    // 000000003344: 923E4458
	s_lshl_b32 s61, 0xff, 16                                   // 000000003348: 8E3D90FF 000000FF
	s_mov_b64 exec, s[60:61]                                   // 000000003350: BEFE013C
	v_mov_b32_e32 v32, s62                                     // 000000003354: 7E40023E
	s_and_b32 s89, s89, 0xffffff                               // 000000003358: 8659FF59 00FFFFFF
	s_mul_i32 s62, s89, s68                                    // 000000003360: 923E4459
	s_lshl_b32 s61, 0xff, 24                                   // 000000003364: 8E3D98FF 000000FF
	s_mov_b64 exec, s[60:61]                                   // 00000000336C: BEFE013C
	v_mov_b32_e32 v32, s62                                     // 000000003370: 7E40023E
	s_mov_b32 s60, -1                                          // 000000003374: BEBC00C1
	s_mov_b32 s61, -1                                          // 000000003378: BEBD00C1
	s_mov_b64 exec, s[60:61]                                   // 00000000337C: BEFE013C
	v_and_b32_e64 v44, v0, 7                                   // 000000003380: D113002C 00010F00
	v_lshlrev_b32_e32 v44, 5, v44                              // 000000003388: 24585885
	v_add_u32_e32 v32, v32, v44                                // 00000000338C: 68405920
	s_mov_b32 s62, 0x100                                       // 000000003390: BEBE00FF 00000100
	v_add_u32_e64 v33, v32, s62                                // 000000003398: D1340021 00007D20
	v_lshlrev_b32_e32 v44, 2, v0                               // 0000000033A0: 24580082
	s_mul_i32 s60, s82, s71                                    // 0000000033A4: 923C4752
	v_add_u32_e64 v80, v44, s60                                // 0000000033A8: D1340050 0000792C
	v_mov_b32_e32 v81, 0                                       // 0000000033B0: 7EA20280
	s_mul_i32 s60, s83, s71                                    // 0000000033B4: 923C4753
	v_add_u32_e64 v82, v44, s60                                // 0000000033B8: D1340052 0000792C
	v_mov_b32_e32 v83, 0                                       // 0000000033C0: 7EA60280
	s_mul_i32 s60, s84, s71                                    // 0000000033C4: 923C4754
	v_add_u32_e64 v84, v44, s60                                // 0000000033C8: D1340054 0000792C
	v_mov_b32_e32 v85, 0                                       // 0000000033D0: 7EAA0280
	s_mul_i32 s60, s85, s71                                    // 0000000033D4: 923C4755
	v_add_u32_e64 v86, v44, s60                                // 0000000033D8: D1340056 0000792C
	v_mov_b32_e32 v87, 0                                       // 0000000033E0: 7EAE0280
	s_mul_i32 s60, s86, s71                                    // 0000000033E4: 923C4756
	v_add_u32_e64 v88, v44, s60                                // 0000000033E8: D1340058 0000792C
	v_mov_b32_e32 v89, 0                                       // 0000000033F0: 7EB20280
	s_mul_i32 s60, s87, s71                                    // 0000000033F4: 923C4757
	v_add_u32_e64 v90, v44, s60                                // 0000000033F8: D134005A 0000792C
	v_mov_b32_e32 v91, 0                                       // 000000003400: 7EB60280
	s_mul_i32 s60, s88, s71                                    // 000000003404: 923C4758
	v_add_u32_e64 v92, v44, s60                                // 000000003408: D134005C 0000792C
	v_mov_b32_e32 v93, 0                                       // 000000003410: 7EBA0280
	s_mul_i32 s60, s89, s71                                    // 000000003414: 923C4759
	v_add_u32_e64 v94, v44, s60                                // 000000003418: D134005E 0000792C
	v_mov_b32_e32 v95, 0                                       // 000000003420: 7EBE0280
	s_mul_i32 s60, s7, 0x420                                   // 000000003424: 923CFF07 00000420
	s_add_u32 s50, 0, s60                                      // 00000000342C: 80323C80
	s_add_u32 s51, 0x2500, s50                                 // 000000003430: 803332FF 00002500
	v_and_b32_e32 v44, 15, v0                                  // 000000003438: 2658008F
	v_lshrrev_b32_e32 v45, 3, v44                              // 00000000343C: 205A5883
	v_mul_lo_u32 v45, 2, v45                                   // 000000003440: D285002D 00025A82
	v_and_b32_e32 v44, 3, v0                                   // 000000003448: 26580083
	v_lshrrev_b32_e32 v46, 1, v44                              // 00000000344C: 205C5881
	v_add_u32_e32 v44, v45, v46                                // 000000003450: 68585D2D
	v_mul_i32_i24_e32 v2, 0x420, v44                           // 000000003454: 0C0458FF 00000420
	v_and_b32_e32 v44, 7, v0                                   // 00000000345C: 26580087
	v_lshrrev_b32_e32 v45, 2, v44                              // 000000003460: 205A5882
	v_mul_i32_i24_e32 v45, 0x100, v45                          // 000000003464: 0C5A5AFF 00000100
	v_and_b32_e32 v44, 1, v0                                   // 00000000346C: 26580081
	v_mul_i32_i24_e32 v46, 0x80, v44                           // 000000003470: 0C5C58FF 00000080
	v_add_u32_e32 v2, v45, v2                                  // 000000003478: 6804052D
	v_add_u32_e32 v2, v46, v2                                  // 00000000347C: 6804052E
	v_lshrrev_b32_e32 v44, 4, v0                               // 000000003480: 20580084
	v_mul_lo_u32 v44, 16, v44                                  // 000000003484: D285002C 00025890
	v_add_u32_e32 v2, v44, v2                                  // 00000000348C: 6804052C
	s_mul_i32 s60, s2, 0x80                                    // 000000003490: 923CFF02 00000080
	s_mul_i32 s60, s60, s69                                    // 000000003498: 923C453C
	s_mul_i32 s61, s5, s72                                     // 00000000349C: 923D4805
	s_add_u32 s60, s61, s60                                    // 0000000034A0: 803C3C3D
	s_add_u32 s24, s60, s24                                    // 0000000034A4: 8018183C
	s_addc_u32 s25, 0, s25                                     // 0000000034A8: 82191980
	s_mul_i32 s60, s7, 16                                      // 0000000034AC: 923C9007
	s_mul_i32 s60, s60, s69                                    // 0000000034B0: 923C453C
	v_lshlrev_b32_e32 v34, 4, v0                               // 0000000034B4: 24440084
	v_add_u32_e32 v34, s60, v34                                // 0000000034B8: 6844443C
	s_mul_i32 s60, 64, s69                                     // 0000000034BC: 923C45C0
	v_add_u32_e32 v35, s60, v34                                // 0000000034C0: 6846443C
	s_mov_b32 s92, s24                                         // 0000000034C4: BEDC0018
	s_mov_b32 s93, s25                                         // 0000000034C8: BEDD0019
	s_mov_b32 s94, s26                                         // 0000000034CC: BEDE001A
	s_mov_b32 s95, s27                                         // 0000000034D0: BEDF001B
	s_mul_i32 s60, s69, s65                                    // 0000000034D4: 923C4145
	s_add_u32 s92, s60, s92                                    // 0000000034D8: 805C5C3C
	s_addc_u32 s93, 0, s93                                     // 0000000034DC: 825D5D80
	s_mul_i32 s60, s2, 0x800                                   // 0000000034E0: 923CFF02 00000800
	s_mul_i32 s61, s5, s73                                     // 0000000034E8: 923D4905
	s_add_u32 s60, s61, s60                                    // 0000000034EC: 803C3C3D
	s_add_u32 s12, s60, s12                                    // 0000000034F0: 800C0C3C
	s_addc_u32 s13, 0, s13                                     // 0000000034F4: 820D0D80
	s_mul_i32 s60, s7, 16                                      // 0000000034F8: 923C9007
	s_mul_i32 s60, s60, s70                                    // 0000000034FC: 923C463C
	v_lshlrev_b32_e32 v36, 4, v0                               // 000000003500: 24480084
	v_add_u32_e32 v36, s60, v36                                // 000000003504: 6848483C
	s_mul_i32 s60, 64, s70                                     // 000000003508: 923C46C0
	v_add_u32_e32 v37, s60, v36                                // 00000000350C: 684A483C
	v_add_u32_e32 v38, s60, v37                                // 000000003510: 684C4A3C
	v_add_u32_e32 v39, s60, v38                                // 000000003514: 684E4C3C
	s_mul_i32 s60, s70, 0x100                                  // 000000003518: 923CFF46 00000100
	s_mov_b32 s78, 0x800                                       // 000000003520: BECE00FF 00000800
	s_mul_i32 s61, s78, 0                                      // 000000003528: 923D804E
	s_sub_u32 s56, s60, s61                                    // 00000000352C: 80B83D3C
	s_mul_i32 s60, s3, 32                                      // 000000003530: 923CA003
	s_mul_i32 s60, 4, s60                                      // 000000003534: 923C3C84
	s_add_u32 s40, s60, s40                                    // 000000003538: 8028283C
	s_addc_u32 s41, 0, s41                                     // 00000000353C: 82292980
	v_and_b32_e32 v44, 15, v0                                  // 000000003540: 2658008F
	v_lshlrev_b32_e32 v9, 2, v44                               // 000000003544: 24125882
	v_add_u32_e32 v10, 64, v9                                  // 000000003548: 681412C0
	s_lshr_b32 s60, s64, 7                                     // 00000000354C: 8F3C8740
	s_mul_i32 s61, s60, 4                                      // 000000003550: 923D843C
	v_and_b32_e64 v11, v0, 0                                   // 000000003554: D113000B 00010100
	v_mul_lo_u32 v11, v11, s61                                 // 00000000355C: D285000B 00007B0B
	v_and_b32_e64 v44, v0, 3                                   // 000000003564: D113002C 00010700
	v_lshrrev_b32_e32 v44, 1, v44                              // 00000000356C: 20585881
	v_mul_lo_u32 v44, 4, v44                                   // 000000003570: D285002C 00025884
	v_add_u32_e32 v11, v11, v44                                // 000000003578: 6816590B
	s_lshr_b32 s60, s65, 7                                     // 00000000357C: 8F3C8741
	s_mul_i32 s60, s60, s61                                    // 000000003580: 923C3D3C
	v_add_u32_e64 v13, v11, s60                                // 000000003584: D134000D 0000790B
	s_mov_b32 s4, 8                                            // 00000000358C: BE840088
	s_mul_i32 s60, s2, 1                                       // 000000003590: 923C8102
	s_mul_i32 s60, s60, s61                                    // 000000003594: 923C3D3C
	s_mul_i32 s61, s5, s74                                     // 000000003598: 923D4A05
	s_add_u32 s61, s61, s60                                    // 00000000359C: 803D3C3D
	s_add_u32 s32, s61, s32                                    // 0000000035A0: 8020203D
	s_addc_u32 s33, 0, s33                                     // 0000000035A4: 82212180
	s_lshr_b32 s60, s65, 7                                     // 0000000035A8: 8F3C8741
	s_mul_i32 s61, s60, 4                                      // 0000000035AC: 923D843C
	s_mul_i32 s60, s2, 1                                       // 0000000035B0: 923C8102
	s_mul_i32 s60, s60, 4                                      // 0000000035B4: 923C843C
	v_and_b32_e64 v6, v0, 1                                    // 0000000035B8: D1130006 00010300
	v_mul_lo_u32 v6, v6, s61                                   // 0000000035C0: D2850006 00007B06
	v_and_b32_e64 v44, v0, 1                                   // 0000000035C8: D113002C 00010300
	v_lshrrev_b32_e32 v44, 1, v44                              // 0000000035D0: 20585881
	v_mul_lo_u32 v44, 4, v44                                   // 0000000035D4: D285002C 00025884
	v_add_i32 v6, v6, v44                                      // 0000000035DC: D29C0006 00025906
	v_add_i32 v6, v6, s60                                      // 0000000035E4: D29C0006 00007906
	s_mul_i32 s60, s5, s75                                     // 0000000035EC: 923C4B05
	s_add_u32 s16, s60, s16                                    // 0000000035F0: 8010103C
	s_addc_u32 s17, 0, s17                                     // 0000000035F4: 82111180
	s_mov_b32 s57, 0x200                                       // 0000000035F8: BEB900FF 00000200
	s_mov_b32 s58, 0x1000                                      // 000000003600: BEBA00FF 00001000
	s_mul_i32 s79, 2, s61                                      // 000000003608: 924F3D82
	s_mov_b32 s59, 0                                           // 00000000360C: BEBB0080
	s_mov_b32 s90, s58                                         // 000000003610: BEDA003A
	s_mov_b32 s52, 0x7060302                                   // 000000003614: BEB400FF 07060302
	s_mov_b32 s53, 0x400                                       // 00000000361C: BEB500FF 00000400
	s_mov_b32 s54, 0x40100                                     // 000000003624: BEB600FF 00040100
	s_mov_b32 s55, 0x4020100                                   // 00000000362C: BEB700FF 04020100
	s_mov_b32 s6, 0x3fb8aa3b                                   // 000000003634: BE8600FF 3FB8AA3B
	s_mov_b32 s77, 0xbd92220c                                  // 00000000363C: BECD00FF BD92220C
	s_mov_b32 m0, s50                                          // 000000003644: BEFC0032
	v_mov_b32_e32 v1, 0xbfcc4231                               // 000000003648: 7E0202FF BFCC4231
	v_mov_b32_e32 v41, 0xffff0000                              // 000000003650: 7E5202FF FFFF0000
	v_mov_b32_e32 v42, 0x7fff0000                              // 000000003658: 7E5402FF 7FFF0000
	v_mov_b32_e32 v43, 0x7fff                                  // 000000003660: 7E5602FF 00007FFF
	s_waitcnt vmcnt(0) expcnt(0) lgkmcnt(0)                    // 000000003668: BF8C0000
	v_and_b32_e32 v7, 0xffffff, v7                             // 00000000366C: 260E0EFF 00FFFFFF
	v_and_b32_e32 v8, 0xffffff, v8                             // 000000003674: 261010FF 00FFFFFF
	v_lshlrev_b32_e32 v7, 2, v7                                // 00000000367C: 240E0E82
	v_lshlrev_b32_e32 v8, 2, v8                                // 000000003680: 24101082
	v_lshlrev_b32_e32 v3, 2, v0                                // 000000003684: 24060082
	buffer_load_dword v23, v11, s[32:35], 0 offen              // 000000003688: E0501000 8008170B
	buffer_load_dword v25, v9, s[40:43], 0 offen               // 000000003690: E0501000 800A1909
	buffer_load_dword v26, v10, s[40:43], 0 offen              // 000000003698: E0501000 800A1A0A
	buffer_load_dwordx4 v[128:131], v32, s[20:23], 0 offen     // 0000000036A0: E05C1000 80058020
	buffer_load_dwordx4 v[132:135], v32, s[20:23], 0 offen offset:16// 0000000036A8: E05C1010 80058420
	buffer_load_dwordx4 v[136:139], v33, s[20:23], 0 offen     // 0000000036B0: E05C1000 80058821
	buffer_load_dwordx4 v[140:143], v33, s[20:23], 0 offen offset:16// 0000000036B8: E05C1010 80058C21
	s_add_u32 s20, s57, s20                                    // 0000000036C0: 80141439
	s_addc_u32 s21, 0, s21                                     // 0000000036C4: 82151580
	buffer_load_dwordx4 a[0:3], v34, s[24:27], 0 offen         // 0000000036C8: E05C1000 80860022
	buffer_load_dwordx4 a[4:7], v34, s[24:27], 0 offen offset:1024// 0000000036D0: E05C1400 80860422
	buffer_load_dwordx4 a[8:11], v35, s[24:27], 0 offen        // 0000000036D8: E05C1000 80860823
	buffer_load_dwordx4 a[12:15], v35, s[24:27], 0 offen offset:1024// 0000000036E0: E05C1400 80860C23
	buffer_load_dwordx4 a[16:19], v34, s[24:27], 0 offen offset:2048// 0000000036E8: E05C1800 80861022
	buffer_load_dwordx4 a[20:23], v34, s[24:27], 0 offen offset:3072// 0000000036F0: E05C1C00 80861422
	buffer_load_dwordx4 a[24:27], v35, s[24:27], 0 offen offset:2048// 0000000036F8: E05C1800 80861823
	buffer_load_dwordx4 a[28:31], v35, s[24:27], 0 offen offset:3072// 000000003700: E05C1C00 80861C23
	s_add_u32 s24, s58, s24                                    // 000000003708: 8018183A
	s_addc_u32 s25, 0, s25                                     // 00000000370C: 82191980
	v_mov_b32_e32 v96, 0                                       // 000000003710: 7EC00280
	v_mov_b32_e32 v64, 0                                       // 000000003714: 7E800280
	v_mov_b32_e32 v97, 0                                       // 000000003718: 7EC20280
	v_mov_b32_e32 v65, 0                                       // 00000000371C: 7E820280
	v_mov_b32_e32 v98, 0                                       // 000000003720: 7EC40280
	v_mov_b32_e32 v66, 0                                       // 000000003724: 7E840280
	v_mov_b32_e32 v99, 0                                       // 000000003728: 7EC60280
	v_mov_b32_e32 v67, 0                                       // 00000000372C: 7E860280
	v_mov_b32_e32 v100, 0                                      // 000000003730: 7EC80280
	v_mov_b32_e32 v68, 0                                       // 000000003734: 7E880280
	v_mov_b32_e32 v101, 0                                      // 000000003738: 7ECA0280
	v_mov_b32_e32 v69, 0                                       // 00000000373C: 7E8A0280
	v_mov_b32_e32 v102, 0                                      // 000000003740: 7ECC0280
	v_mov_b32_e32 v70, 0                                       // 000000003744: 7E8C0280
	v_mov_b32_e32 v103, 0                                      // 000000003748: 7ECE0280
	v_mov_b32_e32 v71, 0                                       // 00000000374C: 7E8E0280
	v_mov_b32_e32 v104, 0                                      // 000000003750: 7ED00280
	v_mov_b32_e32 v72, 0                                       // 000000003754: 7E900280
	v_mov_b32_e32 v105, 0                                      // 000000003758: 7ED20280
	v_mov_b32_e32 v73, 0                                       // 00000000375C: 7E920280
	v_mov_b32_e32 v106, 0                                      // 000000003760: 7ED40280
	v_mov_b32_e32 v74, 0                                       // 000000003764: 7E940280
	v_mov_b32_e32 v107, 0                                      // 000000003768: 7ED60280
	v_mov_b32_e32 v75, 0                                       // 00000000376C: 7E960280
	v_mov_b32_e32 v108, 0                                      // 000000003770: 7ED80280
	v_mov_b32_e32 v76, 0                                       // 000000003774: 7E980280
	v_mov_b32_e32 v109, 0                                      // 000000003778: 7EDA0280
	v_mov_b32_e32 v77, 0                                       // 00000000377C: 7E9A0280
	v_mov_b32_e32 v110, 0                                      // 000000003780: 7EDC0280
	v_mov_b32_e32 v78, 0                                       // 000000003784: 7E9C0280
	v_mov_b32_e32 v111, 0                                      // 000000003788: 7EDE0280
	v_mov_b32_e32 v79, 0                                       // 00000000378C: 7E9E0280
	v_mov_b32_e32 v112, 0                                      // 000000003790: 7EE00280
	v_mov_b32_e32 v80, 0                                       // 000000003794: 7EA00280
	v_mov_b32_e32 v113, 0                                      // 000000003798: 7EE20280
	v_mov_b32_e32 v81, 0                                       // 00000000379C: 7EA20280
	v_mov_b32_e32 v114, 0                                      // 0000000037A0: 7EE40280
	v_mov_b32_e32 v82, 0                                       // 0000000037A4: 7EA40280
	v_mov_b32_e32 v115, 0                                      // 0000000037A8: 7EE60280
	v_mov_b32_e32 v83, 0                                       // 0000000037AC: 7EA60280
	v_mov_b32_e32 v116, 0                                      // 0000000037B0: 7EE80280
	v_mov_b32_e32 v84, 0                                       // 0000000037B4: 7EA80280
	v_mov_b32_e32 v117, 0                                      // 0000000037B8: 7EEA0280
	v_mov_b32_e32 v85, 0                                       // 0000000037BC: 7EAA0280
	v_mov_b32_e32 v118, 0                                      // 0000000037C0: 7EEC0280
	v_mov_b32_e32 v86, 0                                       // 0000000037C4: 7EAC0280
	v_mov_b32_e32 v119, 0                                      // 0000000037C8: 7EEE0280
	v_mov_b32_e32 v87, 0                                       // 0000000037CC: 7EAE0280
	v_mov_b32_e32 v120, 0                                      // 0000000037D0: 7EF00280
	v_mov_b32_e32 v88, 0                                       // 0000000037D4: 7EB00280
	v_mov_b32_e32 v121, 0                                      // 0000000037D8: 7EF20280
	v_mov_b32_e32 v89, 0                                       // 0000000037DC: 7EB20280
	v_mov_b32_e32 v122, 0                                      // 0000000037E0: 7EF40280
	v_mov_b32_e32 v90, 0                                       // 0000000037E4: 7EB40280
	v_mov_b32_e32 v123, 0                                      // 0000000037E8: 7EF60280
	v_mov_b32_e32 v91, 0                                       // 0000000037EC: 7EB60280
	v_mov_b32_e32 v124, 0                                      // 0000000037F0: 7EF80280
	v_mov_b32_e32 v92, 0                                       // 0000000037F4: 7EB80280
	v_mov_b32_e32 v125, 0                                      // 0000000037F8: 7EFA0280
	v_mov_b32_e32 v93, 0                                       // 0000000037FC: 7EBA0280
	v_mov_b32_e32 v126, 0                                      // 000000003800: 7EFC0280
	v_mov_b32_e32 v94, 0                                       // 000000003804: 7EBC0280
	v_mov_b32_e32 v127, 0                                      // 000000003808: 7EFE0280
	v_mov_b32_e32 v95, 0                                       // 00000000380C: 7EBE0280
	v_lshrrev_b32_e32 v44, 4, v0                               // 000000003810: 20580084
	v_mul_lo_u32 v4, 34, v44                                   // 000000003814: D2850004 000258A2
	v_and_b32_e32 v44, 15, v0                                  // 00000000381C: 2658008F
	v_mul_lo_u32 v45, 2, v44                                   // 000000003820: D285002D 00025882
	v_add_u32_e32 v4, v45, v4                                  // 000000003828: 6808092D
	s_mul_i32 s60, s7, 0x88                                    // 00000000382C: 923CFF07 00000088
	v_add_u32_e32 v4, s60, v4                                  // 000000003834: 6808083C
	v_lshlrev_b32_e32 v4, 2, v4                                // 000000003838: 24080882
	v_lshrrev_b32_e32 v44, 1, v0                               // 00000000383C: 20580081
	v_mul_lo_u32 v5, 34, v44                                   // 000000003840: D2850005 000258A2
	v_and_b32_e32 v45, 1, v0                                   // 000000003848: 265A0081
	v_add_u32_e32 v5, v45, v5                                  // 00000000384C: 680A0B2D
	s_mov_b32 s60, 0                                           // 000000003850: BEBC0080
	s_lshr_b32 s61, s7, 1                                      // 000000003854: 8F3D8107
	s_mul_i32 s61, s61, 8                                      // 000000003858: 923D883D
	s_add_u32 s60, s61, s60                                    // 00000000385C: 803C3C3D
	s_and_b32 s61, s7, 1                                       // 000000003860: 863D8107
	s_mul_i32 s61, s61, 2                                      // 000000003864: 923D823D
	s_add_u32 s60, s61, s60                                    // 000000003868: 803C3C3D
	s_mul_i32 s60, 2, s60                                      // 00000000386C: 923C3C82
	v_add_u32_e32 v5, s60, v5                                  // 000000003870: 680A0A3C
	v_lshlrev_b32_e32 v5, 2, v5                                // 000000003874: 240A0A82
	s_waitcnt vmcnt(8)                                         // 000000003878: BF8C0F78
	v_mov_b32_e32 v28, 0x358637bd                              // 00000000387C: 7E3802FF 358637BD
	v_lshlrev_b32_e32 v44, 16, v128                            // 000000003884: 24590090
	v_and_b32_e32 v45, 0xffff0000, v128                        // 000000003888: 265B00FF FFFF0000
	v_max3_f32 v28, |v45|, |v44|, v28                          // 000000003890: D1D3031C 0472592D
	v_lshlrev_b32_e32 v44, 16, v129                            // 000000003898: 24590290
	v_and_b32_e32 v45, 0xffff0000, v129                        // 00000000389C: 265B02FF FFFF0000
	v_max3_f32 v28, |v45|, |v44|, v28                          // 0000000038A4: D1D3031C 0472592D
	v_lshlrev_b32_e32 v44, 16, v130                            // 0000000038AC: 24590490
	v_and_b32_e32 v45, 0xffff0000, v130                        // 0000000038B0: 265B04FF FFFF0000
	v_max3_f32 v28, |v45|, |v44|, v28                          // 0000000038B8: D1D3031C 0472592D
	v_lshlrev_b32_e32 v44, 16, v131                            // 0000000038C0: 24590690
	v_and_b32_e32 v45, 0xffff0000, v131                        // 0000000038C4: 265B06FF FFFF0000
	v_max3_f32 v28, |v45|, |v44|, v28                          // 0000000038CC: D1D3031C 0472592D
	v_lshlrev_b32_e32 v44, 16, v132                            // 0000000038D4: 24590890
	v_and_b32_e32 v45, 0xffff0000, v132                        // 0000000038D8: 265B08FF FFFF0000
	v_max3_f32 v28, |v45|, |v44|, v28                          // 0000000038E0: D1D3031C 0472592D
	v_lshlrev_b32_e32 v44, 16, v133                            // 0000000038E8: 24590A90
	v_and_b32_e32 v45, 0xffff0000, v133                        // 0000000038EC: 265B0AFF FFFF0000
	v_max3_f32 v28, |v45|, |v44|, v28                          // 0000000038F4: D1D3031C 0472592D
	v_lshlrev_b32_e32 v44, 16, v134                            // 0000000038FC: 24590C90
	v_and_b32_e32 v45, 0xffff0000, v134                        // 000000003900: 265B0CFF FFFF0000
	v_max3_f32 v28, |v45|, |v44|, v28                          // 000000003908: D1D3031C 0472592D
	v_lshlrev_b32_e32 v44, 16, v135                            // 000000003910: 24590E90
	v_and_b32_e32 v45, 0xffff0000, v135                        // 000000003914: 265B0EFF FFFF0000
	v_max3_f32 v28, |v45|, |v44|, v28                          // 00000000391C: D1D3031C 0472592D
	s_barrier                                                  // 000000003924: BF8A0000
	v_max_f32_dpp v29, v28, v28 quad_perm:[1,2,3,0] row_mask:0xf bank_mask:0xf// 000000003928: 163A38FA FF00391C
	s_nop 1                                                    // 000000003930: BF800001
	v_max_f32_dpp v44, v29, v29 quad_perm:[2,3,0,1] row_mask:0xf bank_mask:0xf// 000000003934: 16583AFA FF004E1D
	s_nop 1                                                    // 00000000393C: BF800001
	v_max_f32_dpp v28, v44, v44 row_half_mirror row_mask:0xf bank_mask:0xf// 000000003940: 163858FA FF01412C
	s_mov_b32 s60, 0x43e00000                                  // 000000003948: BEBC00FF 43E00000
	s_mov_b32 s61, 0x3b124925                                  // 000000003950: BEBD00FF 3B124925
	s_mov_b32 s62, 0xc3e00000                                  // 000000003958: BEBE00FF C3E00000
	v_rcp_f32_e32 v44, v28                                     // 000000003960: 7E58451C
	v_mul_f32_e32 v30, s61, v28                                // 000000003964: 0A3C383D
	v_fma_f32 v45, v30, s62, v28                               // 000000003968: D1CB002D 04707D1E
	v_fma_f32 v30, v45, s61, v30                               // 000000003970: D1CB001E 04787B2D
	v_mul_f32_e32 v29, s60, v44                                // 000000003978: 0A3A583C
	v_xor_b32_e32 v45, 0x80000000, v28                         // 00000000397C: 2A5A38FF 80000000
	v_fma_f32 v45, v45, v29, s60                               // 000000003984: D1CB002D 00F23B2D
	v_fma_f32 v28, v45, v44, v29                               // 00000000398C: D1CB001C 0476592D
	v_mov_b32_e32 v29, v28                                     // 000000003994: 7E3A031C
	v_lshlrev_b32_e32 v44, 16, v128                            // 000000003998: 24590090
	v_and_b32_e32 v45, 0xffff0000, v128                        // 00000000399C: 265B00FF FFFF0000
	v_pk_mul_f32 v[44:45], v[44:45], v[28:29]                  // 0000000039A4: D3B1402C 1802392C
	v_cvt_pk_fp8_f32 v128, v44, v45                            // 0000000039AC: D2A20080 00025B2C
	v_lshlrev_b32_e32 v44, 16, v129                            // 0000000039B4: 24590290
	v_and_b32_e32 v45, 0xffff0000, v129                        // 0000000039B8: 265B02FF FFFF0000
	v_pk_mul_f32 v[44:45], v[44:45], v[28:29]                  // 0000000039C0: D3B1402C 1802392C
	v_cvt_pk_fp8_f32 v128, v44, v45 op_sel:[0,0,1]             // 0000000039C8: D2A24080 00025B2C
	v_lshlrev_b32_e32 v44, 16, v130                            // 0000000039D0: 24590490
	v_and_b32_e32 v45, 0xffff0000, v130                        // 0000000039D4: 265B04FF FFFF0000
	v_pk_mul_f32 v[44:45], v[44:45], v[28:29]                  // 0000000039DC: D3B1402C 1802392C
	v_cvt_pk_fp8_f32 v129, v44, v45                            // 0000000039E4: D2A20081 00025B2C
	v_lshlrev_b32_e32 v44, 16, v131                            // 0000000039EC: 24590690
	v_and_b32_e32 v45, 0xffff0000, v131                        // 0000000039F0: 265B06FF FFFF0000
	v_pk_mul_f32 v[44:45], v[44:45], v[28:29]                  // 0000000039F8: D3B1402C 1802392C
	v_cvt_pk_fp8_f32 v129, v44, v45 op_sel:[0,0,1]             // 000000003A00: D2A24081 00025B2C
	v_lshlrev_b32_e32 v44, 16, v132                            // 000000003A08: 24590890
	v_and_b32_e32 v45, 0xffff0000, v132                        // 000000003A0C: 265B08FF FFFF0000
	v_pk_mul_f32 v[44:45], v[44:45], v[28:29]                  // 000000003A14: D3B1402C 1802392C
	v_cvt_pk_fp8_f32 v130, v44, v45                            // 000000003A1C: D2A20082 00025B2C
	v_lshlrev_b32_e32 v44, 16, v133                            // 000000003A24: 24590A90
	v_and_b32_e32 v45, 0xffff0000, v133                        // 000000003A28: 265B0AFF FFFF0000
	v_pk_mul_f32 v[44:45], v[44:45], v[28:29]                  // 000000003A30: D3B1402C 1802392C
	v_cvt_pk_fp8_f32 v130, v44, v45 op_sel:[0,0,1]             // 000000003A38: D2A24082 00025B2C
	v_lshlrev_b32_e32 v44, 16, v134                            // 000000003A40: 24590C90
	v_and_b32_e32 v45, 0xffff0000, v134                        // 000000003A44: 265B0CFF FFFF0000
	v_pk_mul_f32 v[44:45], v[44:45], v[28:29]                  // 000000003A4C: D3B1402C 1802392C
	v_cvt_pk_fp8_f32 v131, v44, v45                            // 000000003A54: D2A20083 00025B2C
	v_lshlrev_b32_e32 v44, 16, v135                            // 000000003A5C: 24590E90
	v_and_b32_e32 v45, 0xffff0000, v135                        // 000000003A60: 265B0EFF FFFF0000
	v_pk_mul_f32 v[44:45], v[44:45], v[28:29]                  // 000000003A68: D3B1402C 1802392C
	v_cvt_pk_fp8_f32 v131, v44, v45 op_sel:[0,0,1]             // 000000003A70: D2A24083 00025B2C
	v_lshlrev_b32_e32 v44, 4, v0                               // 000000003A78: 24580084
	v_add_u32_e64 v44, v44, s50                                // 000000003A7C: D134002C 0000652C
	ds_write_b128 v44, v[128:131]                              // 000000003A84: D9BE0000 0000802C
	v_add_u32_e32 v44, 0, v31                                  // 000000003A8C: 68583E80
	s_mov_b64 s[60:61], exec                                   // 000000003A90: BEBC017E
	s_mov_b32 s62, 0xf0f0f0f                                   // 000000003A94: BEBE00FF 0F0F0F0F
	s_mov_b32 s63, 0xf0f0f0f                                   // 000000003A9C: BEBF00FF 0F0F0F0F
	s_mov_b64 exec, s[62:63]                                   // 000000003AA4: BEFE013E
	ds_write_b32 v44, v30 offset:8448                          // 000000003AA8: D81A2100 00001E2C
	s_mov_b64 exec, s[60:61]                                   // 000000003AB0: BEFE013C
	s_waitcnt vmcnt(8)                                         // 000000003AB4: BF8C0F78
	v_mov_b32_e32 v28, 0x358637bd                              // 000000003AB8: 7E3802FF 358637BD
	v_lshlrev_b32_e32 v44, 16, v136                            // 000000003AC0: 24591090
	v_and_b32_e32 v45, 0xffff0000, v136                        // 000000003AC4: 265B10FF FFFF0000
	v_max3_f32 v28, |v45|, |v44|, v28                          // 000000003ACC: D1D3031C 0472592D
	v_lshlrev_b32_e32 v44, 16, v137                            // 000000003AD4: 24591290
	v_and_b32_e32 v45, 0xffff0000, v137                        // 000000003AD8: 265B12FF FFFF0000
	v_max3_f32 v28, |v45|, |v44|, v28                          // 000000003AE0: D1D3031C 0472592D
	v_lshlrev_b32_e32 v44, 16, v138                            // 000000003AE8: 24591490
	v_and_b32_e32 v45, 0xffff0000, v138                        // 000000003AEC: 265B14FF FFFF0000
	v_max3_f32 v28, |v45|, |v44|, v28                          // 000000003AF4: D1D3031C 0472592D
	v_lshlrev_b32_e32 v44, 16, v139                            // 000000003AFC: 24591690
	v_and_b32_e32 v45, 0xffff0000, v139                        // 000000003B00: 265B16FF FFFF0000
	v_max3_f32 v28, |v45|, |v44|, v28                          // 000000003B08: D1D3031C 0472592D
	v_lshlrev_b32_e32 v44, 16, v140                            // 000000003B10: 24591890
	v_and_b32_e32 v45, 0xffff0000, v140                        // 000000003B14: 265B18FF FFFF0000
	v_max3_f32 v28, |v45|, |v44|, v28                          // 000000003B1C: D1D3031C 0472592D
	v_lshlrev_b32_e32 v44, 16, v141                            // 000000003B24: 24591A90
	v_and_b32_e32 v45, 0xffff0000, v141                        // 000000003B28: 265B1AFF FFFF0000
	v_max3_f32 v28, |v45|, |v44|, v28                          // 000000003B30: D1D3031C 0472592D
	v_lshlrev_b32_e32 v44, 16, v142                            // 000000003B38: 24591C90
	v_and_b32_e32 v45, 0xffff0000, v142                        // 000000003B3C: 265B1CFF FFFF0000
	v_max3_f32 v28, |v45|, |v44|, v28                          // 000000003B44: D1D3031C 0472592D
	v_lshlrev_b32_e32 v44, 16, v143                            // 000000003B4C: 24591E90
	v_and_b32_e32 v45, 0xffff0000, v143                        // 000000003B50: 265B1EFF FFFF0000
	v_max3_f32 v28, |v45|, |v44|, v28                          // 000000003B58: D1D3031C 0472592D
	s_barrier                                                  // 000000003B60: BF8A0000
	v_max_f32_dpp v29, v28, v28 quad_perm:[1,2,3,0] row_mask:0xf bank_mask:0xf// 000000003B64: 163A38FA FF00391C
	s_nop 1                                                    // 000000003B6C: BF800001
	v_max_f32_dpp v44, v29, v29 quad_perm:[2,3,0,1] row_mask:0xf bank_mask:0xf// 000000003B70: 16583AFA FF004E1D
	s_nop 1                                                    // 000000003B78: BF800001
	v_max_f32_dpp v28, v44, v44 row_half_mirror row_mask:0xf bank_mask:0xf// 000000003B7C: 163858FA FF01412C
	s_mov_b32 s60, 0x43e00000                                  // 000000003B84: BEBC00FF 43E00000
	s_mov_b32 s61, 0x3b124925                                  // 000000003B8C: BEBD00FF 3B124925
	s_mov_b32 s62, 0xc3e00000                                  // 000000003B94: BEBE00FF C3E00000
	v_rcp_f32_e32 v44, v28                                     // 000000003B9C: 7E58451C
	v_mul_f32_e32 v30, s61, v28                                // 000000003BA0: 0A3C383D
	v_fma_f32 v45, v30, s62, v28                               // 000000003BA4: D1CB002D 04707D1E
	v_fma_f32 v30, v45, s61, v30                               // 000000003BAC: D1CB001E 04787B2D
	v_mul_f32_e32 v29, s60, v44                                // 000000003BB4: 0A3A583C
	v_xor_b32_e32 v45, 0x80000000, v28                         // 000000003BB8: 2A5A38FF 80000000
	v_fma_f32 v45, v45, v29, s60                               // 000000003BC0: D1CB002D 00F23B2D
	v_fma_f32 v28, v45, v44, v29                               // 000000003BC8: D1CB001C 0476592D
	v_mov_b32_e32 v29, v28                                     // 000000003BD0: 7E3A031C
	v_lshlrev_b32_e32 v44, 16, v136                            // 000000003BD4: 24591090
	v_and_b32_e32 v45, 0xffff0000, v136                        // 000000003BD8: 265B10FF FFFF0000
	v_pk_mul_f32 v[44:45], v[44:45], v[28:29]                  // 000000003BE0: D3B1402C 1802392C
	v_cvt_pk_fp8_f32 v136, v44, v45                            // 000000003BE8: D2A20088 00025B2C
	v_lshlrev_b32_e32 v44, 16, v137                            // 000000003BF0: 24591290
	v_and_b32_e32 v45, 0xffff0000, v137                        // 000000003BF4: 265B12FF FFFF0000
	v_pk_mul_f32 v[44:45], v[44:45], v[28:29]                  // 000000003BFC: D3B1402C 1802392C
	v_cvt_pk_fp8_f32 v136, v44, v45 op_sel:[0,0,1]             // 000000003C04: D2A24088 00025B2C
	v_lshlrev_b32_e32 v44, 16, v138                            // 000000003C0C: 24591490
	v_and_b32_e32 v45, 0xffff0000, v138                        // 000000003C10: 265B14FF FFFF0000
	v_pk_mul_f32 v[44:45], v[44:45], v[28:29]                  // 000000003C18: D3B1402C 1802392C
	v_cvt_pk_fp8_f32 v137, v44, v45                            // 000000003C20: D2A20089 00025B2C
	v_lshlrev_b32_e32 v44, 16, v139                            // 000000003C28: 24591690
	v_and_b32_e32 v45, 0xffff0000, v139                        // 000000003C2C: 265B16FF FFFF0000
	v_pk_mul_f32 v[44:45], v[44:45], v[28:29]                  // 000000003C34: D3B1402C 1802392C
	v_cvt_pk_fp8_f32 v137, v44, v45 op_sel:[0,0,1]             // 000000003C3C: D2A24089 00025B2C
	v_lshlrev_b32_e32 v44, 16, v140                            // 000000003C44: 24591890
	v_and_b32_e32 v45, 0xffff0000, v140                        // 000000003C48: 265B18FF FFFF0000
	v_pk_mul_f32 v[44:45], v[44:45], v[28:29]                  // 000000003C50: D3B1402C 1802392C
	v_cvt_pk_fp8_f32 v138, v44, v45                            // 000000003C58: D2A2008A 00025B2C
	v_lshlrev_b32_e32 v44, 16, v141                            // 000000003C60: 24591A90
	v_and_b32_e32 v45, 0xffff0000, v141                        // 000000003C64: 265B1AFF FFFF0000
	v_pk_mul_f32 v[44:45], v[44:45], v[28:29]                  // 000000003C6C: D3B1402C 1802392C
	v_cvt_pk_fp8_f32 v138, v44, v45 op_sel:[0,0,1]             // 000000003C74: D2A2408A 00025B2C
	v_lshlrev_b32_e32 v44, 16, v142                            // 000000003C7C: 24591C90
	v_and_b32_e32 v45, 0xffff0000, v142                        // 000000003C80: 265B1CFF FFFF0000
	v_pk_mul_f32 v[44:45], v[44:45], v[28:29]                  // 000000003C88: D3B1402C 1802392C
	v_cvt_pk_fp8_f32 v139, v44, v45                            // 000000003C90: D2A2008B 00025B2C
	v_lshlrev_b32_e32 v44, 16, v143                            // 000000003C98: 24591E90
	v_and_b32_e32 v45, 0xffff0000, v143                        // 000000003C9C: 265B1EFF FFFF0000
	v_pk_mul_f32 v[44:45], v[44:45], v[28:29]                  // 000000003CA4: D3B1402C 1802392C
	v_cvt_pk_fp8_f32 v139, v44, v45 op_sel:[0,0,1]             // 000000003CAC: D2A2408B 00025B2C
	v_lshlrev_b32_e32 v44, 4, v0                               // 000000003CB4: 24580084
	v_add_u32_e64 v44, v44, s50                                // 000000003CB8: D134002C 0000652C
	ds_write_b128 v44, v[136:139] offset:4224                  // 000000003CC0: D9BE1080 0000882C
	v_add_u32_e32 v44, 0x200, v31                              // 000000003CC8: 68583EFF 00000200
	s_mov_b64 s[60:61], exec                                   // 000000003CD0: BEBC017E
	s_mov_b32 s62, 0xf0f0f0f                                   // 000000003CD4: BEBE00FF 0F0F0F0F
	s_mov_b32 s63, 0xf0f0f0f                                   // 000000003CDC: BEBF00FF 0F0F0F0F
	s_mov_b64 exec, s[62:63]                                   // 000000003CE4: BEFE013E
	ds_write_b32 v44, v30 offset:8448                          // 000000003CE8: D81A2100 00001E2C
	s_mov_b64 exec, s[60:61]                                   // 000000003CF0: BEFE013C
	s_waitcnt lgkmcnt(0)                                       // 000000003CF4: BF8CC07F
	s_barrier                                                  // 000000003CF8: BF8A0000
	ds_read_b128 v[128:131], v2                                // 000000003CFC: D9FE0000 80000002
	ds_read_b128 v[132:135], v2 offset:64                      // 000000003D04: D9FE0040 84000002
	ds_read_b128 v[136:139], v2 offset:4224                    // 000000003D0C: D9FE1080 88000002
	ds_read_b128 v[140:143], v2 offset:4288                    // 000000003D14: D9FE10C0 8C000002
	ds_read_b128 v[144:147], v2 offset:512                     // 000000003D1C: D9FE0200 90000002
	ds_read_b128 v[148:151], v2 offset:576                     // 000000003D24: D9FE0240 94000002
	ds_read_b128 v[152:155], v2 offset:4736                    // 000000003D2C: D9FE1280 98000002
	ds_read_b128 v[156:159], v2 offset:4800                    // 000000003D34: D9FE12C0 9C000002
	ds_read_b32 v15, v3 offset:8448                            // 000000003D3C: D86C2100 0F000003
	ds_read_b32 v16, v3 offset:8704                            // 000000003D44: D86C2200 10000003
	ds_read_b32 v17, v3 offset:8960                            // 000000003D4C: D86C2300 11000003
	ds_read_b32 v18, v3 offset:9216                            // 000000003D54: D86C2400 12000003
	s_cmp_lt_i32 s7, 2                                         // 000000003D5C: BF048207
	s_cbranch_scc0 label_0BF4                                  // 000000003D60: BF84081B

0000000000003d64 <label_03D9>:
	s_waitcnt vmcnt(4) lgkmcnt(0)                              // 000000003D64: BF8C0074
	s_barrier                                                  // 000000003D68: BF8A0000
	v_mfma_f32_16x16x128_f8f6f4 v[112:115], a[0:7], v[128:135], 0// 000000003D6C: D3AD0070 0A030100
	v_mfma_f32_16x16x128_f8f6f4 v[116:119], a[0:7], v[144:151], 0// 000000003D74: D3AD0074 0A032100
	buffer_load_dwordx4 v[160:163], v32, s[20:23], 0 offen     // 000000003D7C: E05C1000 8005A020
	buffer_load_dwordx4 v[164:167], v32, s[20:23], 0 offen offset:16// 000000003D84: E05C1010 8005A420
	buffer_load_dwordx4 v[168:171], v33, s[20:23], 0 offen     // 000000003D8C: E05C1000 8005A821
	buffer_load_dwordx4 v[172:175], v33, s[20:23], 0 offen offset:16// 000000003D94: E05C1010 8005AC21
	buffer_load_dwordx4 a[32:35], v34, s[92:95], 0 offen       // 000000003D9C: E05C1000 80972022
	buffer_load_dwordx4 a[36:39], v34, s[92:95], 0 offen offset:1024// 000000003DA4: E05C1400 80972422
	v_mfma_f32_16x16x128_f8f6f4 v[120:123], a[8:15], v[128:135], 0// 000000003DAC: D3AD0078 0A030108
	v_mfma_f32_16x16x128_f8f6f4 v[124:127], a[8:15], v[144:151], 0// 000000003DB4: D3AD007C 0A032108
	buffer_load_dwordx4 a[40:43], v35, s[92:95], 0 offen       // 000000003DBC: E05C1000 80972823
	buffer_load_dwordx4 a[44:47], v35, s[92:95], 0 offen offset:1024// 000000003DC4: E05C1400 80972C23
	buffer_load_dword v24, v13, s[32:35], 0 offen              // 000000003DCC: E0501000 8008180D
	v_mul_f32_dpp v44, v23, v15 row_newbcast:0 row_mask:0xf bank_mask:0xf// 000000003DD4: 0A581EFA FF015017
	v_mov_b32_e32 v45, v44                                     // 000000003DDC: 7E5A032C
	v_pk_fma_f32 v[96:97], v[112:113], v[44:45], v[96:97]      // 000000003DE0: D3B04060 1D825970
	v_pk_fma_f32 v[98:99], v[114:115], v[44:45], v[98:99]      // 000000003DE8: D3B04062 1D8A5972
	v_pk_fma_f32 v[104:105], v[120:121], v[44:45], v[104:105]  // 000000003DF0: D3B04068 1DA25978
	v_pk_fma_f32 v[106:107], v[122:123], v[44:45], v[106:107]  // 000000003DF8: D3B0406A 1DAA597A
	v_mul_f32_dpp v44, v23, v16 row_newbcast:0 row_mask:0xf bank_mask:0xf// 000000003E00: 0A5820FA FF015017
	v_mov_b32_e32 v45, v44                                     // 000000003E08: 7E5A032C
	v_pk_fma_f32 v[100:101], v[116:117], v[44:45], v[100:101]  // 000000003E0C: D3B04064 1D925974
	v_pk_fma_f32 v[102:103], v[118:119], v[44:45], v[102:103]  // 000000003E14: D3B04066 1D9A5976
	v_pk_fma_f32 v[108:109], v[124:125], v[44:45], v[108:109]  // 000000003E1C: D3B0406C 1DB2597C
	v_pk_fma_f32 v[110:111], v[126:127], v[44:45], v[110:111]  // 000000003E24: D3B0406E 1DBA597E
	s_waitcnt vmcnt(9)                                         // 000000003E2C: BF8C0F79
	v_mfma_f32_16x16x128_f8f6f4 v[112:115], a[16:23], v[136:143], 0// 000000003E30: D3AD0070 0A031110
	v_mfma_f32_16x16x128_f8f6f4 v[116:119], a[16:23], v[152:159], 0// 000000003E38: D3AD0074 0A033110
	buffer_load_dwordx4 a[48:51], v34, s[92:95], 0 offen offset:2048// 000000003E40: E05C1800 80973022
	buffer_load_dwordx4 a[52:55], v34, s[92:95], 0 offen offset:3072// 000000003E48: E05C1C00 80973422
	v_mfma_f32_16x16x128_f8f6f4 v[120:123], a[24:31], v[136:143], 0// 000000003E50: D3AD0078 0A031118
	v_mfma_f32_16x16x128_f8f6f4 v[124:127], a[24:31], v[152:159], 0// 000000003E58: D3AD007C 0A033118
	buffer_load_dwordx4 a[56:59], v35, s[92:95], 0 offen offset:2048// 000000003E60: E05C1800 80973823
	buffer_load_dwordx4 a[60:63], v35, s[92:95], 0 offen offset:3072// 000000003E68: E05C1C00 80973C23
	v_mul_f32_dpp v44, v23, v17 row_newbcast:2 row_mask:0xf bank_mask:0xf// 000000003E70: 0A5822FA FF015217
	v_mov_b32_e32 v45, v44                                     // 000000003E78: 7E5A032C
	v_pk_fma_f32 v[96:97], v[112:113], v[44:45], v[96:97]      // 000000003E7C: D3B04060 1D825970
	v_pk_fma_f32 v[98:99], v[114:115], v[44:45], v[98:99]      // 000000003E84: D3B04062 1D8A5972
	v_pk_fma_f32 v[104:105], v[120:121], v[44:45], v[104:105]  // 000000003E8C: D3B04068 1DA25978
	v_pk_fma_f32 v[106:107], v[122:123], v[44:45], v[106:107]  // 000000003E94: D3B0406A 1DAA597A
	v_mul_f32_dpp v44, v23, v18 row_newbcast:2 row_mask:0xf bank_mask:0xf// 000000003E9C: 0A5824FA FF015217
	v_mov_b32_e32 v45, v44                                     // 000000003EA4: 7E5A032C
	v_pk_fma_f32 v[100:101], v[116:117], v[44:45], v[100:101]  // 000000003EA8: D3B04064 1D925974
	v_pk_fma_f32 v[102:103], v[118:119], v[44:45], v[102:103]  // 000000003EB0: D3B04066 1D9A5976
	v_pk_fma_f32 v[108:109], v[124:125], v[44:45], v[108:109]  // 000000003EB8: D3B0406C 1DB2597C
	v_pk_fma_f32 v[110:111], v[126:127], v[44:45], v[110:111]  // 000000003EC0: D3B0406E 1DBA597E
	s_waitcnt vmcnt(11)                                        // 000000003EC8: BF8C0F7B
	v_mov_b32_e32 v28, 0x358637bd                              // 000000003ECC: 7E3802FF 358637BD
	v_lshlrev_b32_e32 v44, 16, v160                            // 000000003ED4: 24594090
	v_and_b32_e32 v45, 0xffff0000, v160                        // 000000003ED8: 265B40FF FFFF0000
	v_max3_f32 v28, |v45|, |v44|, v28                          // 000000003EE0: D1D3031C 0472592D
	v_lshlrev_b32_e32 v44, 16, v161                            // 000000003EE8: 24594290
	v_and_b32_e32 v45, 0xffff0000, v161                        // 000000003EEC: 265B42FF FFFF0000
	v_max3_f32 v28, |v45|, |v44|, v28                          // 000000003EF4: D1D3031C 0472592D
	v_lshlrev_b32_e32 v44, 16, v162                            // 000000003EFC: 24594490
	v_and_b32_e32 v45, 0xffff0000, v162                        // 000000003F00: 265B44FF FFFF0000
	v_max3_f32 v28, |v45|, |v44|, v28                          // 000000003F08: D1D3031C 0472592D
	v_lshlrev_b32_e32 v44, 16, v163                            // 000000003F10: 24594690
	v_and_b32_e32 v45, 0xffff0000, v163                        // 000000003F14: 265B46FF FFFF0000
	v_max3_f32 v28, |v45|, |v44|, v28                          // 000000003F1C: D1D3031C 0472592D
	v_lshlrev_b32_e32 v44, 16, v164                            // 000000003F24: 24594890
	v_and_b32_e32 v45, 0xffff0000, v164                        // 000000003F28: 265B48FF FFFF0000
	v_max3_f32 v28, |v45|, |v44|, v28                          // 000000003F30: D1D3031C 0472592D
	v_lshlrev_b32_e32 v44, 16, v165                            // 000000003F38: 24594A90
	v_and_b32_e32 v45, 0xffff0000, v165                        // 000000003F3C: 265B4AFF FFFF0000
	v_max3_f32 v28, |v45|, |v44|, v28                          // 000000003F44: D1D3031C 0472592D
	v_lshlrev_b32_e32 v44, 16, v166                            // 000000003F4C: 24594C90
	v_and_b32_e32 v45, 0xffff0000, v166                        // 000000003F50: 265B4CFF FFFF0000
	v_max3_f32 v28, |v45|, |v44|, v28                          // 000000003F58: D1D3031C 0472592D
	v_lshlrev_b32_e32 v44, 16, v167                            // 000000003F60: 24594E90
	v_and_b32_e32 v45, 0xffff0000, v167                        // 000000003F64: 265B4EFF FFFF0000
	v_max3_f32 v28, |v45|, |v44|, v28                          // 000000003F6C: D1D3031C 0472592D
	s_barrier                                                  // 000000003F74: BF8A0000
	v_max_f32_dpp v29, v28, v28 quad_perm:[1,2,3,0] row_mask:0xf bank_mask:0xf// 000000003F78: 163A38FA FF00391C
	s_nop 1                                                    // 000000003F80: BF800001
	v_max_f32_dpp v44, v29, v29 quad_perm:[2,3,0,1] row_mask:0xf bank_mask:0xf// 000000003F84: 16583AFA FF004E1D
	s_nop 1                                                    // 000000003F8C: BF800001
	v_max_f32_dpp v28, v44, v44 row_half_mirror row_mask:0xf bank_mask:0xf// 000000003F90: 163858FA FF01412C
	s_mov_b32 s60, 0x43e00000                                  // 000000003F98: BEBC00FF 43E00000
	s_mov_b32 s61, 0x3b124925                                  // 000000003FA0: BEBD00FF 3B124925
	s_mov_b32 s62, 0xc3e00000                                  // 000000003FA8: BEBE00FF C3E00000
	v_rcp_f32_e32 v44, v28                                     // 000000003FB0: 7E58451C
	v_mul_f32_e32 v30, s61, v28                                // 000000003FB4: 0A3C383D
	v_fma_f32 v45, v30, s62, v28                               // 000000003FB8: D1CB002D 04707D1E
	v_fma_f32 v30, v45, s61, v30                               // 000000003FC0: D1CB001E 04787B2D
	v_mul_f32_e32 v29, s60, v44                                // 000000003FC8: 0A3A583C
	v_xor_b32_e32 v45, 0x80000000, v28                         // 000000003FCC: 2A5A38FF 80000000
	v_fma_f32 v45, v45, v29, s60                               // 000000003FD4: D1CB002D 00F23B2D
	v_fma_f32 v28, v45, v44, v29                               // 000000003FDC: D1CB001C 0476592D
	v_mov_b32_e32 v29, v28                                     // 000000003FE4: 7E3A031C
	v_lshlrev_b32_e32 v44, 16, v160                            // 000000003FE8: 24594090
	v_and_b32_e32 v45, 0xffff0000, v160                        // 000000003FEC: 265B40FF FFFF0000
	v_pk_mul_f32 v[44:45], v[44:45], v[28:29]                  // 000000003FF4: D3B1402C 1802392C
	v_cvt_pk_fp8_f32 v160, v44, v45                            // 000000003FFC: D2A200A0 00025B2C
	v_lshlrev_b32_e32 v44, 16, v161                            // 000000004004: 24594290
	v_and_b32_e32 v45, 0xffff0000, v161                        // 000000004008: 265B42FF FFFF0000
	v_pk_mul_f32 v[44:45], v[44:45], v[28:29]                  // 000000004010: D3B1402C 1802392C
	v_cvt_pk_fp8_f32 v160, v44, v45 op_sel:[0,0,1]             // 000000004018: D2A240A0 00025B2C
	v_lshlrev_b32_e32 v44, 16, v162                            // 000000004020: 24594490
	v_and_b32_e32 v45, 0xffff0000, v162                        // 000000004024: 265B44FF FFFF0000
	v_pk_mul_f32 v[44:45], v[44:45], v[28:29]                  // 00000000402C: D3B1402C 1802392C
	v_cvt_pk_fp8_f32 v161, v44, v45                            // 000000004034: D2A200A1 00025B2C
	v_lshlrev_b32_e32 v44, 16, v163                            // 00000000403C: 24594690
	v_and_b32_e32 v45, 0xffff0000, v163                        // 000000004040: 265B46FF FFFF0000
	v_pk_mul_f32 v[44:45], v[44:45], v[28:29]                  // 000000004048: D3B1402C 1802392C
	v_cvt_pk_fp8_f32 v161, v44, v45 op_sel:[0,0,1]             // 000000004050: D2A240A1 00025B2C
	v_lshlrev_b32_e32 v44, 16, v164                            // 000000004058: 24594890
	v_and_b32_e32 v45, 0xffff0000, v164                        // 00000000405C: 265B48FF FFFF0000
	v_pk_mul_f32 v[44:45], v[44:45], v[28:29]                  // 000000004064: D3B1402C 1802392C
	v_cvt_pk_fp8_f32 v162, v44, v45                            // 00000000406C: D2A200A2 00025B2C
	v_lshlrev_b32_e32 v44, 16, v165                            // 000000004074: 24594A90
	v_and_b32_e32 v45, 0xffff0000, v165                        // 000000004078: 265B4AFF FFFF0000
	v_pk_mul_f32 v[44:45], v[44:45], v[28:29]                  // 000000004080: D3B1402C 1802392C
	v_cvt_pk_fp8_f32 v162, v44, v45 op_sel:[0,0,1]             // 000000004088: D2A240A2 00025B2C
	v_lshlrev_b32_e32 v44, 16, v166                            // 000000004090: 24594C90
	v_and_b32_e32 v45, 0xffff0000, v166                        // 000000004094: 265B4CFF FFFF0000
	v_pk_mul_f32 v[44:45], v[44:45], v[28:29]                  // 00000000409C: D3B1402C 1802392C
	v_cvt_pk_fp8_f32 v163, v44, v45                            // 0000000040A4: D2A200A3 00025B2C
	v_lshlrev_b32_e32 v44, 16, v167                            // 0000000040AC: 24594E90
	v_and_b32_e32 v45, 0xffff0000, v167                        // 0000000040B0: 265B4EFF FFFF0000
	v_pk_mul_f32 v[44:45], v[44:45], v[28:29]                  // 0000000040B8: D3B1402C 1802392C
	v_cvt_pk_fp8_f32 v163, v44, v45 op_sel:[0,0,1]             // 0000000040C0: D2A240A3 00025B2C
	v_lshlrev_b32_e32 v44, 4, v0                               // 0000000040C8: 24580084
	v_add_u32_e64 v44, v44, s51                                // 0000000040CC: D134002C 0000672C
	ds_write_b128 v44, v[160:163]                              // 0000000040D4: D9BE0000 0000A02C
	v_add_u32_e32 v44, 0, v31                                  // 0000000040DC: 68583E80
	s_mov_b64 s[60:61], exec                                   // 0000000040E0: BEBC017E
	s_mov_b32 s62, 0xf0f0f0f                                   // 0000000040E4: BEBE00FF 0F0F0F0F
	s_mov_b32 s63, 0xf0f0f0f                                   // 0000000040EC: BEBF00FF 0F0F0F0F
	s_mov_b64 exec, s[62:63]                                   // 0000000040F4: BEFE013E
	ds_write_b32 v44, v30 offset:17920                         // 0000000040F8: D81A4600 00001E2C
	s_mov_b64 exec, s[60:61]                                   // 000000004100: BEFE013C
	s_add_u32 s60, 0x100, s80                                  // 000000004104: 803C50FF 00000100
	s_cmp_lt_u32 s60, s81                                      // 00000000410C: BF0A513C
	s_cselect_b32 s4, s4, 0                                    // 000000004110: 85048004
	s_add_u32 s32, s4, s32                                     // 000000004114: 80202004
	s_addc_u32 s33, 0, s33                                     // 000000004118: 82212180
	s_waitcnt vmcnt(4)                                         // 00000000411C: BF8C0F74
	s_barrier                                                  // 000000004120: BF8A0000
	v_mfma_f32_16x16x128_f8f6f4 v[112:115], a[32:39], v[128:135], 0// 000000004124: D3AD0070 0A030120
	v_mfma_f32_16x16x128_f8f6f4 v[116:119], a[32:39], v[144:151], 0// 00000000412C: D3AD0074 0A032120
	buffer_load_dwordx4 a[0:3], v34, s[24:27], 0 offen         // 000000004134: E05C1000 80860022
	buffer_load_dwordx4 a[4:7], v34, s[24:27], 0 offen offset:1024// 00000000413C: E05C1400 80860422
	buffer_load_dword v23, v11, s[32:35], 0 offen              // 000000004144: E0501000 8008170B
	v_mfma_f32_16x16x128_f8f6f4 v[120:123], a[40:47], v[128:135], 0// 00000000414C: D3AD0078 0A030128
	v_mfma_f32_16x16x128_f8f6f4 v[124:127], a[40:47], v[144:151], 0// 000000004154: D3AD007C 0A032128
	buffer_load_dwordx4 a[8:11], v35, s[24:27], 0 offen        // 00000000415C: E05C1000 80860823
	buffer_load_dwordx4 a[12:15], v35, s[24:27], 0 offen offset:1024// 000000004164: E05C1400 80860C23
	s_waitcnt vmcnt(14)                                        // 00000000416C: BF8C0F7E
	v_mov_b32_e32 v28, 0x358637bd                              // 000000004170: 7E3802FF 358637BD
	v_lshlrev_b32_e32 v44, 16, v168                            // 000000004178: 24595090
	v_and_b32_e32 v45, 0xffff0000, v168                        // 00000000417C: 265B50FF FFFF0000
	v_max3_f32 v28, |v45|, |v44|, v28                          // 000000004184: D1D3031C 0472592D
	v_lshlrev_b32_e32 v44, 16, v169                            // 00000000418C: 24595290
	v_and_b32_e32 v45, 0xffff0000, v169                        // 000000004190: 265B52FF FFFF0000
	v_max3_f32 v28, |v45|, |v44|, v28                          // 000000004198: D1D3031C 0472592D
	v_lshlrev_b32_e32 v44, 16, v170                            // 0000000041A0: 24595490
	v_and_b32_e32 v45, 0xffff0000, v170                        // 0000000041A4: 265B54FF FFFF0000
	v_max3_f32 v28, |v45|, |v44|, v28                          // 0000000041AC: D1D3031C 0472592D
	v_lshlrev_b32_e32 v44, 16, v171                            // 0000000041B4: 24595690
	v_and_b32_e32 v45, 0xffff0000, v171                        // 0000000041B8: 265B56FF FFFF0000
	v_max3_f32 v28, |v45|, |v44|, v28                          // 0000000041C0: D1D3031C 0472592D
	v_lshlrev_b32_e32 v44, 16, v172                            // 0000000041C8: 24595890
	v_and_b32_e32 v45, 0xffff0000, v172                        // 0000000041CC: 265B58FF FFFF0000
	v_max3_f32 v28, |v45|, |v44|, v28                          // 0000000041D4: D1D3031C 0472592D
	v_lshlrev_b32_e32 v44, 16, v173                            // 0000000041DC: 24595A90
	v_and_b32_e32 v45, 0xffff0000, v173                        // 0000000041E0: 265B5AFF FFFF0000
	v_max3_f32 v28, |v45|, |v44|, v28                          // 0000000041E8: D1D3031C 0472592D
	v_lshlrev_b32_e32 v44, 16, v174                            // 0000000041F0: 24595C90
	v_and_b32_e32 v45, 0xffff0000, v174                        // 0000000041F4: 265B5CFF FFFF0000
	v_max3_f32 v28, |v45|, |v44|, v28                          // 0000000041FC: D1D3031C 0472592D
	v_lshlrev_b32_e32 v44, 16, v175                            // 000000004204: 24595E90
	v_and_b32_e32 v45, 0xffff0000, v175                        // 000000004208: 265B5EFF FFFF0000
	v_max3_f32 v28, |v45|, |v44|, v28                          // 000000004210: D1D3031C 0472592D
	s_barrier                                                  // 000000004218: BF8A0000
	v_max_f32_dpp v29, v28, v28 quad_perm:[1,2,3,0] row_mask:0xf bank_mask:0xf// 00000000421C: 163A38FA FF00391C
	s_nop 1                                                    // 000000004224: BF800001
	v_max_f32_dpp v44, v29, v29 quad_perm:[2,3,0,1] row_mask:0xf bank_mask:0xf// 000000004228: 16583AFA FF004E1D
	s_nop 1                                                    // 000000004230: BF800001
	v_max_f32_dpp v28, v44, v44 row_half_mirror row_mask:0xf bank_mask:0xf// 000000004234: 163858FA FF01412C
	s_mov_b32 s60, 0x43e00000                                  // 00000000423C: BEBC00FF 43E00000
	s_mov_b32 s61, 0x3b124925                                  // 000000004244: BEBD00FF 3B124925
	s_mov_b32 s62, 0xc3e00000                                  // 00000000424C: BEBE00FF C3E00000
	v_rcp_f32_e32 v44, v28                                     // 000000004254: 7E58451C
	v_mul_f32_e32 v30, s61, v28                                // 000000004258: 0A3C383D
	v_fma_f32 v45, v30, s62, v28                               // 00000000425C: D1CB002D 04707D1E
	v_fma_f32 v30, v45, s61, v30                               // 000000004264: D1CB001E 04787B2D
	v_mul_f32_e32 v29, s60, v44                                // 00000000426C: 0A3A583C
	v_xor_b32_e32 v45, 0x80000000, v28                         // 000000004270: 2A5A38FF 80000000
	v_fma_f32 v45, v45, v29, s60                               // 000000004278: D1CB002D 00F23B2D
	v_fma_f32 v28, v45, v44, v29                               // 000000004280: D1CB001C 0476592D
	v_mov_b32_e32 v29, v28                                     // 000000004288: 7E3A031C
	v_lshlrev_b32_e32 v44, 16, v168                            // 00000000428C: 24595090
	v_and_b32_e32 v45, 0xffff0000, v168                        // 000000004290: 265B50FF FFFF0000
	v_pk_mul_f32 v[44:45], v[44:45], v[28:29]                  // 000000004298: D3B1402C 1802392C
	v_cvt_pk_fp8_f32 v168, v44, v45                            // 0000000042A0: D2A200A8 00025B2C
	v_lshlrev_b32_e32 v44, 16, v169                            // 0000000042A8: 24595290
	v_and_b32_e32 v45, 0xffff0000, v169                        // 0000000042AC: 265B52FF FFFF0000
	v_pk_mul_f32 v[44:45], v[44:45], v[28:29]                  // 0000000042B4: D3B1402C 1802392C
	v_cvt_pk_fp8_f32 v168, v44, v45 op_sel:[0,0,1]             // 0000000042BC: D2A240A8 00025B2C
	v_lshlrev_b32_e32 v44, 16, v170                            // 0000000042C4: 24595490
	v_and_b32_e32 v45, 0xffff0000, v170                        // 0000000042C8: 265B54FF FFFF0000
	v_pk_mul_f32 v[44:45], v[44:45], v[28:29]                  // 0000000042D0: D3B1402C 1802392C
	v_cvt_pk_fp8_f32 v169, v44, v45                            // 0000000042D8: D2A200A9 00025B2C
	v_lshlrev_b32_e32 v44, 16, v171                            // 0000000042E0: 24595690
	v_and_b32_e32 v45, 0xffff0000, v171                        // 0000000042E4: 265B56FF FFFF0000
	v_pk_mul_f32 v[44:45], v[44:45], v[28:29]                  // 0000000042EC: D3B1402C 1802392C
	v_cvt_pk_fp8_f32 v169, v44, v45 op_sel:[0,0,1]             // 0000000042F4: D2A240A9 00025B2C
	v_lshlrev_b32_e32 v44, 16, v172                            // 0000000042FC: 24595890
	v_and_b32_e32 v45, 0xffff0000, v172                        // 000000004300: 265B58FF FFFF0000
	v_pk_mul_f32 v[44:45], v[44:45], v[28:29]                  // 000000004308: D3B1402C 1802392C
	v_cvt_pk_fp8_f32 v170, v44, v45                            // 000000004310: D2A200AA 00025B2C
	v_lshlrev_b32_e32 v44, 16, v173                            // 000000004318: 24595A90
	v_and_b32_e32 v45, 0xffff0000, v173                        // 00000000431C: 265B5AFF FFFF0000
	v_pk_mul_f32 v[44:45], v[44:45], v[28:29]                  // 000000004324: D3B1402C 1802392C
	v_cvt_pk_fp8_f32 v170, v44, v45 op_sel:[0,0,1]             // 00000000432C: D2A240AA 00025B2C
	v_lshlrev_b32_e32 v44, 16, v174                            // 000000004334: 24595C90
	v_and_b32_e32 v45, 0xffff0000, v174                        // 000000004338: 265B5CFF FFFF0000
	v_pk_mul_f32 v[44:45], v[44:45], v[28:29]                  // 000000004340: D3B1402C 1802392C
	v_cvt_pk_fp8_f32 v171, v44, v45                            // 000000004348: D2A200AB 00025B2C
	v_lshlrev_b32_e32 v44, 16, v175                            // 000000004350: 24595E90
	v_and_b32_e32 v45, 0xffff0000, v175                        // 000000004354: 265B5EFF FFFF0000
	v_pk_mul_f32 v[44:45], v[44:45], v[28:29]                  // 00000000435C: D3B1402C 1802392C
	v_cvt_pk_fp8_f32 v171, v44, v45 op_sel:[0,0,1]             // 000000004364: D2A240AB 00025B2C
	v_lshlrev_b32_e32 v44, 4, v0                               // 00000000436C: 24580084
	v_add_u32_e64 v44, v44, s51                                // 000000004370: D134002C 0000672C
	ds_write_b128 v44, v[168:171] offset:4224                  // 000000004378: D9BE1080 0000A82C
	v_add_u32_e32 v44, 0x200, v31                              // 000000004380: 68583EFF 00000200
	s_mov_b64 s[60:61], exec                                   // 000000004388: BEBC017E
	s_mov_b32 s62, 0xf0f0f0f                                   // 00000000438C: BEBE00FF 0F0F0F0F
	s_mov_b32 s63, 0xf0f0f0f                                   // 000000004394: BEBF00FF 0F0F0F0F
	s_mov_b64 exec, s[62:63]                                   // 00000000439C: BEFE013E
	ds_write_b32 v44, v30 offset:17920                         // 0000000043A0: D81A4600 00001E2C
	s_mov_b64 exec, s[60:61]                                   // 0000000043A8: BEFE013C
	v_mul_f32_dpp v44, v24, v15 row_newbcast:0 row_mask:0xf bank_mask:0xf// 0000000043AC: 0A581EFA FF015018
	v_mov_b32_e32 v45, v44                                     // 0000000043B4: 7E5A032C
	v_pk_fma_f32 v[64:65], v[112:113], v[44:45], v[64:65]      // 0000000043B8: D3B04040 1D025970
	v_pk_fma_f32 v[66:67], v[114:115], v[44:45], v[66:67]      // 0000000043C0: D3B04042 1D0A5972
	v_pk_fma_f32 v[72:73], v[120:121], v[44:45], v[72:73]      // 0000000043C8: D3B04048 1D225978
	v_pk_fma_f32 v[74:75], v[122:123], v[44:45], v[74:75]      // 0000000043D0: D3B0404A 1D2A597A
	v_mul_f32_dpp v44, v24, v16 row_newbcast:0 row_mask:0xf bank_mask:0xf// 0000000043D8: 0A5820FA FF015018
	v_mov_b32_e32 v45, v44                                     // 0000000043E0: 7E5A032C
	v_pk_fma_f32 v[68:69], v[116:117], v[44:45], v[68:69]      // 0000000043E4: D3B04044 1D125974
	v_pk_fma_f32 v[70:71], v[118:119], v[44:45], v[70:71]      // 0000000043EC: D3B04046 1D1A5976
	v_pk_fma_f32 v[76:77], v[124:125], v[44:45], v[76:77]      // 0000000043F4: D3B0404C 1D32597C
	v_pk_fma_f32 v[78:79], v[126:127], v[44:45], v[78:79]      // 0000000043FC: D3B0404E 1D3A597E
	s_waitcnt vmcnt(5)                                         // 000000004404: BF8C0F75
	v_mfma_f32_16x16x128_f8f6f4 v[112:115], a[48:55], v[136:143], 0// 000000004408: D3AD0070 0A031130
	s_waitcnt lgkmcnt(0)                                       // 000000004410: BF8CC07F
	s_barrier                                                  // 000000004414: BF8A0000
	ds_read_b128 v[160:163], v2 offset:9472                    // 000000004418: D9FE2500 A0000002
	ds_read_b128 v[164:167], v2 offset:9536                    // 000000004420: D9FE2540 A4000002
	ds_read_b128 v[168:171], v2 offset:13696                   // 000000004428: D9FE3580 A8000002
	ds_read_b128 v[172:175], v2 offset:13760                   // 000000004430: D9FE35C0 AC000002
	ds_read_b32 v19, v3 offset:17920                           // 000000004438: D86C4600 13000003
	ds_read_b32 v20, v3 offset:18176                           // 000000004440: D86C4700 14000003
	v_mfma_f32_16x16x128_f8f6f4 v[116:119], a[48:55], v[152:159], 0// 000000004448: D3AD0074 0A033130
	buffer_load_dwordx4 a[16:19], v34, s[24:27], 0 offen offset:2048// 000000004450: E05C1800 80861022
	buffer_load_dwordx4 a[20:23], v34, s[24:27], 0 offen offset:3072// 000000004458: E05C1C00 80861422
	v_mfma_f32_16x16x128_f8f6f4 v[120:123], a[56:63], v[136:143], 0// 000000004460: D3AD0078 0A031138
	ds_read_b128 v[176:179], v2 offset:9984                    // 000000004468: D9FE2700 B0000002
	ds_read_b128 v[180:183], v2 offset:10048                   // 000000004470: D9FE2740 B4000002
	ds_read_b128 v[184:187], v2 offset:14208                   // 000000004478: D9FE3780 B8000002
	ds_read_b128 v[188:191], v2 offset:14272                   // 000000004480: D9FE37C0 BC000002
	ds_read_b32 v21, v3 offset:18432                           // 000000004488: D86C4800 15000003
	ds_read_b32 v22, v3 offset:18688                           // 000000004490: D86C4900 16000003
	v_mfma_f32_16x16x128_f8f6f4 v[124:127], a[56:63], v[152:159], 0// 000000004498: D3AD007C 0A033138
	buffer_load_dwordx4 a[24:27], v35, s[24:27], 0 offen offset:2048// 0000000044A0: E05C1800 80861823
	buffer_load_dwordx4 a[28:31], v35, s[24:27], 0 offen offset:3072// 0000000044A8: E05C1C00 80861C23
	v_mul_f32_dpp v44, v24, v17 row_newbcast:2 row_mask:0xf bank_mask:0xf// 0000000044B0: 0A5822FA FF015218
	v_mov_b32_e32 v45, v44                                     // 0000000044B8: 7E5A032C
	v_pk_fma_f32 v[64:65], v[112:113], v[44:45], v[64:65]      // 0000000044BC: D3B04040 1D025970
	v_pk_fma_f32 v[66:67], v[114:115], v[44:45], v[66:67]      // 0000000044C4: D3B04042 1D0A5972
	v_pk_fma_f32 v[72:73], v[120:121], v[44:45], v[72:73]      // 0000000044CC: D3B04048 1D225978
	v_pk_fma_f32 v[74:75], v[122:123], v[44:45], v[74:75]      // 0000000044D4: D3B0404A 1D2A597A
	v_mul_f32_dpp v44, v24, v18 row_newbcast:2 row_mask:0xf bank_mask:0xf// 0000000044DC: 0A5824FA FF015218
	v_mov_b32_e32 v45, v44                                     // 0000000044E4: 7E5A032C
	v_pk_fma_f32 v[68:69], v[116:117], v[44:45], v[68:69]      // 0000000044E8: D3B04044 1D125974
	v_pk_fma_f32 v[70:71], v[118:119], v[44:45], v[70:71]      // 0000000044F0: D3B04046 1D1A5976
	v_pk_fma_f32 v[76:77], v[124:125], v[44:45], v[76:77]      // 0000000044F8: D3B0404C 1D32597C
	v_pk_fma_f32 v[78:79], v[126:127], v[44:45], v[78:79]      // 000000004500: D3B0404E 1D3A597E
	s_add_u32 s60, 0x200, s80                                  // 000000004508: 803C50FF 00000200
	s_cmp_lt_u32 s60, s81                                      // 000000004510: BF0A513C
	s_cselect_b32 s57, s57, 0                                  // 000000004514: 85398039
	s_add_u32 s60, 0x200, s80                                  // 000000004518: 803C50FF 00000200
	s_cmp_lt_u32 s60, s81                                      // 000000004520: BF0A513C
	s_cselect_b32 s58, s58, 0                                  // 000000004524: 853A803A
	s_add_u32 s20, s57, s20                                    // 000000004528: 80141439
	s_addc_u32 s21, 0, s21                                     // 00000000452C: 82151580
	s_add_u32 s24, s58, s24                                    // 000000004530: 8018183A
	s_addc_u32 s25, 0, s25                                     // 000000004534: 82191980
	s_add_u32 s92, s90, s92                                    // 000000004538: 805C5C5A
	s_addc_u32 s93, 0, s93                                     // 00000000453C: 825D5D80
	s_addk_i32 s80, 0x100                                      // 000000004540: B7500100
	s_cmp_lt_i32 s80, s81                                      // 000000004544: BF045150
	s_cbranch_scc0 label_07CE                                  // 000000004548: BF8401FB
	s_waitcnt vmcnt(4) lgkmcnt(0)                              // 00000000454C: BF8C0074
	s_barrier                                                  // 000000004550: BF8A0000
	v_mfma_f32_16x16x128_f8f6f4 v[112:115], a[0:7], v[160:167], 0// 000000004554: D3AD0070 0A034100
	v_mfma_f32_16x16x128_f8f6f4 v[116:119], a[0:7], v[176:183], 0// 00000000455C: D3AD0074 0A036100
	buffer_load_dwordx4 v[128:131], v32, s[20:23], 0 offen     // 000000004564: E05C1000 80058020
	buffer_load_dwordx4 v[132:135], v32, s[20:23], 0 offen offset:16// 00000000456C: E05C1010 80058420
	buffer_load_dwordx4 v[136:139], v33, s[20:23], 0 offen     // 000000004574: E05C1000 80058821
	buffer_load_dwordx4 v[140:143], v33, s[20:23], 0 offen offset:16// 00000000457C: E05C1010 80058C21
	buffer_load_dwordx4 a[32:35], v34, s[92:95], 0 offen       // 000000004584: E05C1000 80972022
	buffer_load_dwordx4 a[36:39], v34, s[92:95], 0 offen offset:1024// 00000000458C: E05C1400 80972422
	v_mfma_f32_16x16x128_f8f6f4 v[120:123], a[8:15], v[160:167], 0// 000000004594: D3AD0078 0A034108
	v_mfma_f32_16x16x128_f8f6f4 v[124:127], a[8:15], v[176:183], 0// 00000000459C: D3AD007C 0A036108
	buffer_load_dwordx4 a[40:43], v35, s[92:95], 0 offen       // 0000000045A4: E05C1000 80972823
	buffer_load_dwordx4 a[44:47], v35, s[92:95], 0 offen offset:1024// 0000000045AC: E05C1400 80972C23
	buffer_load_dword v24, v13, s[32:35], 0 offen              // 0000000045B4: E0501000 8008180D
	v_mul_f32_dpp v44, v23, v19 row_newbcast:0 row_mask:0xf bank_mask:0xf// 0000000045BC: 0A5826FA FF015017
	v_mov_b32_e32 v45, v44                                     // 0000000045C4: 7E5A032C
	v_pk_fma_f32 v[96:97], v[112:113], v[44:45], v[96:97]      // 0000000045C8: D3B04060 1D825970
	v_pk_fma_f32 v[98:99], v[114:115], v[44:45], v[98:99]      // 0000000045D0: D3B04062 1D8A5972
	v_pk_fma_f32 v[104:105], v[120:121], v[44:45], v[104:105]  // 0000000045D8: D3B04068 1DA25978
	v_pk_fma_f32 v[106:107], v[122:123], v[44:45], v[106:107]  // 0000000045E0: D3B0406A 1DAA597A
	v_mul_f32_dpp v44, v23, v20 row_newbcast:0 row_mask:0xf bank_mask:0xf// 0000000045E8: 0A5828FA FF015017
	v_mov_b32_e32 v45, v44                                     // 0000000045F0: 7E5A032C
	v_pk_fma_f32 v[100:101], v[116:117], v[44:45], v[100:101]  // 0000000045F4: D3B04064 1D925974
	v_pk_fma_f32 v[102:103], v[118:119], v[44:45], v[102:103]  // 0000000045FC: D3B04066 1D9A5976
	v_pk_fma_f32 v[108:109], v[124:125], v[44:45], v[108:109]  // 000000004604: D3B0406C 1DB2597C
	v_pk_fma_f32 v[110:111], v[126:127], v[44:45], v[110:111]  // 00000000460C: D3B0406E 1DBA597E
	s_waitcnt vmcnt(9)                                         // 000000004614: BF8C0F79
	v_mfma_f32_16x16x128_f8f6f4 v[112:115], a[16:23], v[168:175], 0// 000000004618: D3AD0070 0A035110
	v_mfma_f32_16x16x128_f8f6f4 v[116:119], a[16:23], v[184:191], 0// 000000004620: D3AD0074 0A037110
	buffer_load_dwordx4 a[48:51], v34, s[92:95], 0 offen offset:2048// 000000004628: E05C1800 80973022
	buffer_load_dwordx4 a[52:55], v34, s[92:95], 0 offen offset:3072// 000000004630: E05C1C00 80973422
	v_mfma_f32_16x16x128_f8f6f4 v[120:123], a[24:31], v[168:175], 0// 000000004638: D3AD0078 0A035118
	v_mfma_f32_16x16x128_f8f6f4 v[124:127], a[24:31], v[184:191], 0// 000000004640: D3AD007C 0A037118
	buffer_load_dwordx4 a[56:59], v35, s[92:95], 0 offen offset:2048// 000000004648: E05C1800 80973823
	buffer_load_dwordx4 a[60:63], v35, s[92:95], 0 offen offset:3072// 000000004650: E05C1C00 80973C23
	v_mul_f32_dpp v44, v23, v21 row_newbcast:2 row_mask:0xf bank_mask:0xf// 000000004658: 0A582AFA FF015217
	v_mov_b32_e32 v45, v44                                     // 000000004660: 7E5A032C
	v_pk_fma_f32 v[96:97], v[112:113], v[44:45], v[96:97]      // 000000004664: D3B04060 1D825970
	v_pk_fma_f32 v[98:99], v[114:115], v[44:45], v[98:99]      // 00000000466C: D3B04062 1D8A5972
	v_pk_fma_f32 v[104:105], v[120:121], v[44:45], v[104:105]  // 000000004674: D3B04068 1DA25978
	v_pk_fma_f32 v[106:107], v[122:123], v[44:45], v[106:107]  // 00000000467C: D3B0406A 1DAA597A
	v_mul_f32_dpp v44, v23, v22 row_newbcast:2 row_mask:0xf bank_mask:0xf// 000000004684: 0A582CFA FF015217
	v_mov_b32_e32 v45, v44                                     // 00000000468C: 7E5A032C
	v_pk_fma_f32 v[100:101], v[116:117], v[44:45], v[100:101]  // 000000004690: D3B04064 1D925974
	v_pk_fma_f32 v[102:103], v[118:119], v[44:45], v[102:103]  // 000000004698: D3B04066 1D9A5976
	v_pk_fma_f32 v[108:109], v[124:125], v[44:45], v[108:109]  // 0000000046A0: D3B0406C 1DB2597C
	v_pk_fma_f32 v[110:111], v[126:127], v[44:45], v[110:111]  // 0000000046A8: D3B0406E 1DBA597E
	s_waitcnt vmcnt(11)                                        // 0000000046B0: BF8C0F7B
	v_mov_b32_e32 v28, 0x358637bd                              // 0000000046B4: 7E3802FF 358637BD
	v_lshlrev_b32_e32 v44, 16, v128                            // 0000000046BC: 24590090
	v_and_b32_e32 v45, 0xffff0000, v128                        // 0000000046C0: 265B00FF FFFF0000
	v_max3_f32 v28, |v45|, |v44|, v28                          // 0000000046C8: D1D3031C 0472592D
	v_lshlrev_b32_e32 v44, 16, v129                            // 0000000046D0: 24590290
	v_and_b32_e32 v45, 0xffff0000, v129                        // 0000000046D4: 265B02FF FFFF0000
	v_max3_f32 v28, |v45|, |v44|, v28                          // 0000000046DC: D1D3031C 0472592D
	v_lshlrev_b32_e32 v44, 16, v130                            // 0000000046E4: 24590490
	v_and_b32_e32 v45, 0xffff0000, v130                        // 0000000046E8: 265B04FF FFFF0000
	v_max3_f32 v28, |v45|, |v44|, v28                          // 0000000046F0: D1D3031C 0472592D
	v_lshlrev_b32_e32 v44, 16, v131                            // 0000000046F8: 24590690
	v_and_b32_e32 v45, 0xffff0000, v131                        // 0000000046FC: 265B06FF FFFF0000
	v_max3_f32 v28, |v45|, |v44|, v28                          // 000000004704: D1D3031C 0472592D
	v_lshlrev_b32_e32 v44, 16, v132                            // 00000000470C: 24590890
	v_and_b32_e32 v45, 0xffff0000, v132                        // 000000004710: 265B08FF FFFF0000
	v_max3_f32 v28, |v45|, |v44|, v28                          // 000000004718: D1D3031C 0472592D
	v_lshlrev_b32_e32 v44, 16, v133                            // 000000004720: 24590A90
	v_and_b32_e32 v45, 0xffff0000, v133                        // 000000004724: 265B0AFF FFFF0000
	v_max3_f32 v28, |v45|, |v44|, v28                          // 00000000472C: D1D3031C 0472592D
	v_lshlrev_b32_e32 v44, 16, v134                            // 000000004734: 24590C90
	v_and_b32_e32 v45, 0xffff0000, v134                        // 000000004738: 265B0CFF FFFF0000
	v_max3_f32 v28, |v45|, |v44|, v28                          // 000000004740: D1D3031C 0472592D
	v_lshlrev_b32_e32 v44, 16, v135                            // 000000004748: 24590E90
	v_and_b32_e32 v45, 0xffff0000, v135                        // 00000000474C: 265B0EFF FFFF0000
	v_max3_f32 v28, |v45|, |v44|, v28                          // 000000004754: D1D3031C 0472592D
	s_barrier                                                  // 00000000475C: BF8A0000
	v_max_f32_dpp v29, v28, v28 quad_perm:[1,2,3,0] row_mask:0xf bank_mask:0xf// 000000004760: 163A38FA FF00391C
	s_nop 1                                                    // 000000004768: BF800001
	v_max_f32_dpp v44, v29, v29 quad_perm:[2,3,0,1] row_mask:0xf bank_mask:0xf// 00000000476C: 16583AFA FF004E1D
	s_nop 1                                                    // 000000004774: BF800001
	v_max_f32_dpp v28, v44, v44 row_half_mirror row_mask:0xf bank_mask:0xf// 000000004778: 163858FA FF01412C
	s_mov_b32 s60, 0x43e00000                                  // 000000004780: BEBC00FF 43E00000
	s_mov_b32 s61, 0x3b124925                                  // 000000004788: BEBD00FF 3B124925
	s_mov_b32 s62, 0xc3e00000                                  // 000000004790: BEBE00FF C3E00000
	v_rcp_f32_e32 v44, v28                                     // 000000004798: 7E58451C
	v_mul_f32_e32 v30, s61, v28                                // 00000000479C: 0A3C383D
	v_fma_f32 v45, v30, s62, v28                               // 0000000047A0: D1CB002D 04707D1E
	v_fma_f32 v30, v45, s61, v30                               // 0000000047A8: D1CB001E 04787B2D
	v_mul_f32_e32 v29, s60, v44                                // 0000000047B0: 0A3A583C
	v_xor_b32_e32 v45, 0x80000000, v28                         // 0000000047B4: 2A5A38FF 80000000
	v_fma_f32 v45, v45, v29, s60                               // 0000000047BC: D1CB002D 00F23B2D
	v_fma_f32 v28, v45, v44, v29                               // 0000000047C4: D1CB001C 0476592D
	v_mov_b32_e32 v29, v28                                     // 0000000047CC: 7E3A031C
	v_lshlrev_b32_e32 v44, 16, v128                            // 0000000047D0: 24590090
	v_and_b32_e32 v45, 0xffff0000, v128                        // 0000000047D4: 265B00FF FFFF0000
	v_pk_mul_f32 v[44:45], v[44:45], v[28:29]                  // 0000000047DC: D3B1402C 1802392C
	v_cvt_pk_fp8_f32 v128, v44, v45                            // 0000000047E4: D2A20080 00025B2C
	v_lshlrev_b32_e32 v44, 16, v129                            // 0000000047EC: 24590290
	v_and_b32_e32 v45, 0xffff0000, v129                        // 0000000047F0: 265B02FF FFFF0000
	v_pk_mul_f32 v[44:45], v[44:45], v[28:29]                  // 0000000047F8: D3B1402C 1802392C
	v_cvt_pk_fp8_f32 v128, v44, v45 op_sel:[0,0,1]             // 000000004800: D2A24080 00025B2C
	v_lshlrev_b32_e32 v44, 16, v130                            // 000000004808: 24590490
	v_and_b32_e32 v45, 0xffff0000, v130                        // 00000000480C: 265B04FF FFFF0000
	v_pk_mul_f32 v[44:45], v[44:45], v[28:29]                  // 000000004814: D3B1402C 1802392C
	v_cvt_pk_fp8_f32 v129, v44, v45                            // 00000000481C: D2A20081 00025B2C
	v_lshlrev_b32_e32 v44, 16, v131                            // 000000004824: 24590690
	v_and_b32_e32 v45, 0xffff0000, v131                        // 000000004828: 265B06FF FFFF0000
	v_pk_mul_f32 v[44:45], v[44:45], v[28:29]                  // 000000004830: D3B1402C 1802392C
	v_cvt_pk_fp8_f32 v129, v44, v45 op_sel:[0,0,1]             // 000000004838: D2A24081 00025B2C
	v_lshlrev_b32_e32 v44, 16, v132                            // 000000004840: 24590890
	v_and_b32_e32 v45, 0xffff0000, v132                        // 000000004844: 265B08FF FFFF0000
	v_pk_mul_f32 v[44:45], v[44:45], v[28:29]                  // 00000000484C: D3B1402C 1802392C
	v_cvt_pk_fp8_f32 v130, v44, v45                            // 000000004854: D2A20082 00025B2C
	v_lshlrev_b32_e32 v44, 16, v133                            // 00000000485C: 24590A90
	v_and_b32_e32 v45, 0xffff0000, v133                        // 000000004860: 265B0AFF FFFF0000
	v_pk_mul_f32 v[44:45], v[44:45], v[28:29]                  // 000000004868: D3B1402C 1802392C
	v_cvt_pk_fp8_f32 v130, v44, v45 op_sel:[0,0,1]             // 000000004870: D2A24082 00025B2C
	v_lshlrev_b32_e32 v44, 16, v134                            // 000000004878: 24590C90
	v_and_b32_e32 v45, 0xffff0000, v134                        // 00000000487C: 265B0CFF FFFF0000
	v_pk_mul_f32 v[44:45], v[44:45], v[28:29]                  // 000000004884: D3B1402C 1802392C
	v_cvt_pk_fp8_f32 v131, v44, v45                            // 00000000488C: D2A20083 00025B2C
	v_lshlrev_b32_e32 v44, 16, v135                            // 000000004894: 24590E90
	v_and_b32_e32 v45, 0xffff0000, v135                        // 000000004898: 265B0EFF FFFF0000
	v_pk_mul_f32 v[44:45], v[44:45], v[28:29]                  // 0000000048A0: D3B1402C 1802392C
	v_cvt_pk_fp8_f32 v131, v44, v45 op_sel:[0,0,1]             // 0000000048A8: D2A24083 00025B2C
	v_lshlrev_b32_e32 v44, 4, v0                               // 0000000048B0: 24580084
	v_add_u32_e64 v44, v44, s50                                // 0000000048B4: D134002C 0000652C
	ds_write_b128 v44, v[128:131]                              // 0000000048BC: D9BE0000 0000802C
	v_add_u32_e32 v44, 0, v31                                  // 0000000048C4: 68583E80
	s_mov_b64 s[60:61], exec                                   // 0000000048C8: BEBC017E
	s_mov_b32 s62, 0xf0f0f0f                                   // 0000000048CC: BEBE00FF 0F0F0F0F
	s_mov_b32 s63, 0xf0f0f0f                                   // 0000000048D4: BEBF00FF 0F0F0F0F
	s_mov_b64 exec, s[62:63]                                   // 0000000048DC: BEFE013E
	ds_write_b32 v44, v30 offset:8448                          // 0000000048E0: D81A2100 00001E2C
	s_mov_b64 exec, s[60:61]                                   // 0000000048E8: BEFE013C
	s_add_u32 s60, 0x100, s80                                  // 0000000048EC: 803C50FF 00000100
	s_cmp_lt_u32 s60, s81                                      // 0000000048F4: BF0A513C
	s_cselect_b32 s4, s4, 0                                    // 0000000048F8: 85048004
	s_add_u32 s32, s4, s32                                     // 0000000048FC: 80202004
	s_addc_u32 s33, 0, s33                                     // 000000004900: 82212180
	s_waitcnt vmcnt(4)                                         // 000000004904: BF8C0F74
	s_barrier                                                  // 000000004908: BF8A0000
	v_mfma_f32_16x16x128_f8f6f4 v[112:115], a[32:39], v[160:167], 0// 00000000490C: D3AD0070 0A034120
	v_mfma_f32_16x16x128_f8f6f4 v[116:119], a[32:39], v[176:183], 0// 000000004914: D3AD0074 0A036120
	buffer_load_dwordx4 a[0:3], v34, s[24:27], 0 offen         // 00000000491C: E05C1000 80860022
	buffer_load_dwordx4 a[4:7], v34, s[24:27], 0 offen offset:1024// 000000004924: E05C1400 80860422
	buffer_load_dword v23, v11, s[32:35], 0 offen              // 00000000492C: E0501000 8008170B
	v_mfma_f32_16x16x128_f8f6f4 v[120:123], a[40:47], v[160:167], 0// 000000004934: D3AD0078 0A034128
	v_mfma_f32_16x16x128_f8f6f4 v[124:127], a[40:47], v[176:183], 0// 00000000493C: D3AD007C 0A036128
	buffer_load_dwordx4 a[8:11], v35, s[24:27], 0 offen        // 000000004944: E05C1000 80860823
	buffer_load_dwordx4 a[12:15], v35, s[24:27], 0 offen offset:1024// 00000000494C: E05C1400 80860C23
	s_waitcnt vmcnt(14)                                        // 000000004954: BF8C0F7E
	v_mov_b32_e32 v28, 0x358637bd                              // 000000004958: 7E3802FF 358637BD
	v_lshlrev_b32_e32 v44, 16, v136                            // 000000004960: 24591090
	v_and_b32_e32 v45, 0xffff0000, v136                        // 000000004964: 265B10FF FFFF0000
	v_max3_f32 v28, |v45|, |v44|, v28                          // 00000000496C: D1D3031C 0472592D
	v_lshlrev_b32_e32 v44, 16, v137                            // 000000004974: 24591290
	v_and_b32_e32 v45, 0xffff0000, v137                        // 000000004978: 265B12FF FFFF0000
	v_max3_f32 v28, |v45|, |v44|, v28                          // 000000004980: D1D3031C 0472592D
	v_lshlrev_b32_e32 v44, 16, v138                            // 000000004988: 24591490
	v_and_b32_e32 v45, 0xffff0000, v138                        // 00000000498C: 265B14FF FFFF0000
	v_max3_f32 v28, |v45|, |v44|, v28                          // 000000004994: D1D3031C 0472592D
	v_lshlrev_b32_e32 v44, 16, v139                            // 00000000499C: 24591690
	v_and_b32_e32 v45, 0xffff0000, v139                        // 0000000049A0: 265B16FF FFFF0000
	v_max3_f32 v28, |v45|, |v44|, v28                          // 0000000049A8: D1D3031C 0472592D
	v_lshlrev_b32_e32 v44, 16, v140                            // 0000000049B0: 24591890
	v_and_b32_e32 v45, 0xffff0000, v140                        // 0000000049B4: 265B18FF FFFF0000
	v_max3_f32 v28, |v45|, |v44|, v28                          // 0000000049BC: D1D3031C 0472592D
	v_lshlrev_b32_e32 v44, 16, v141                            // 0000000049C4: 24591A90
	v_and_b32_e32 v45, 0xffff0000, v141                        // 0000000049C8: 265B1AFF FFFF0000
	v_max3_f32 v28, |v45|, |v44|, v28                          // 0000000049D0: D1D3031C 0472592D
	v_lshlrev_b32_e32 v44, 16, v142                            // 0000000049D8: 24591C90
	v_and_b32_e32 v45, 0xffff0000, v142                        // 0000000049DC: 265B1CFF FFFF0000
	v_max3_f32 v28, |v45|, |v44|, v28                          // 0000000049E4: D1D3031C 0472592D
	v_lshlrev_b32_e32 v44, 16, v143                            // 0000000049EC: 24591E90
	v_and_b32_e32 v45, 0xffff0000, v143                        // 0000000049F0: 265B1EFF FFFF0000
	v_max3_f32 v28, |v45|, |v44|, v28                          // 0000000049F8: D1D3031C 0472592D
	s_barrier                                                  // 000000004A00: BF8A0000
	v_max_f32_dpp v29, v28, v28 quad_perm:[1,2,3,0] row_mask:0xf bank_mask:0xf// 000000004A04: 163A38FA FF00391C
	s_nop 1                                                    // 000000004A0C: BF800001
	v_max_f32_dpp v44, v29, v29 quad_perm:[2,3,0,1] row_mask:0xf bank_mask:0xf// 000000004A10: 16583AFA FF004E1D
	s_nop 1                                                    // 000000004A18: BF800001
	v_max_f32_dpp v28, v44, v44 row_half_mirror row_mask:0xf bank_mask:0xf// 000000004A1C: 163858FA FF01412C
	s_mov_b32 s60, 0x43e00000                                  // 000000004A24: BEBC00FF 43E00000
	s_mov_b32 s61, 0x3b124925                                  // 000000004A2C: BEBD00FF 3B124925
	s_mov_b32 s62, 0xc3e00000                                  // 000000004A34: BEBE00FF C3E00000
	v_rcp_f32_e32 v44, v28                                     // 000000004A3C: 7E58451C
	v_mul_f32_e32 v30, s61, v28                                // 000000004A40: 0A3C383D
	v_fma_f32 v45, v30, s62, v28                               // 000000004A44: D1CB002D 04707D1E
	v_fma_f32 v30, v45, s61, v30                               // 000000004A4C: D1CB001E 04787B2D
	v_mul_f32_e32 v29, s60, v44                                // 000000004A54: 0A3A583C
	v_xor_b32_e32 v45, 0x80000000, v28                         // 000000004A58: 2A5A38FF 80000000
	v_fma_f32 v45, v45, v29, s60                               // 000000004A60: D1CB002D 00F23B2D
	v_fma_f32 v28, v45, v44, v29                               // 000000004A68: D1CB001C 0476592D
	v_mov_b32_e32 v29, v28                                     // 000000004A70: 7E3A031C
	v_lshlrev_b32_e32 v44, 16, v136                            // 000000004A74: 24591090
	v_and_b32_e32 v45, 0xffff0000, v136                        // 000000004A78: 265B10FF FFFF0000
	v_pk_mul_f32 v[44:45], v[44:45], v[28:29]                  // 000000004A80: D3B1402C 1802392C
	v_cvt_pk_fp8_f32 v136, v44, v45                            // 000000004A88: D2A20088 00025B2C
	v_lshlrev_b32_e32 v44, 16, v137                            // 000000004A90: 24591290
	v_and_b32_e32 v45, 0xffff0000, v137                        // 000000004A94: 265B12FF FFFF0000
	v_pk_mul_f32 v[44:45], v[44:45], v[28:29]                  // 000000004A9C: D3B1402C 1802392C
	v_cvt_pk_fp8_f32 v136, v44, v45 op_sel:[0,0,1]             // 000000004AA4: D2A24088 00025B2C
	v_lshlrev_b32_e32 v44, 16, v138                            // 000000004AAC: 24591490
	v_and_b32_e32 v45, 0xffff0000, v138                        // 000000004AB0: 265B14FF FFFF0000
	v_pk_mul_f32 v[44:45], v[44:45], v[28:29]                  // 000000004AB8: D3B1402C 1802392C
	v_cvt_pk_fp8_f32 v137, v44, v45                            // 000000004AC0: D2A20089 00025B2C
	v_lshlrev_b32_e32 v44, 16, v139                            // 000000004AC8: 24591690
	v_and_b32_e32 v45, 0xffff0000, v139                        // 000000004ACC: 265B16FF FFFF0000
	v_pk_mul_f32 v[44:45], v[44:45], v[28:29]                  // 000000004AD4: D3B1402C 1802392C
	v_cvt_pk_fp8_f32 v137, v44, v45 op_sel:[0,0,1]             // 000000004ADC: D2A24089 00025B2C
	v_lshlrev_b32_e32 v44, 16, v140                            // 000000004AE4: 24591890
	v_and_b32_e32 v45, 0xffff0000, v140                        // 000000004AE8: 265B18FF FFFF0000
	v_pk_mul_f32 v[44:45], v[44:45], v[28:29]                  // 000000004AF0: D3B1402C 1802392C
	v_cvt_pk_fp8_f32 v138, v44, v45                            // 000000004AF8: D2A2008A 00025B2C
	v_lshlrev_b32_e32 v44, 16, v141                            // 000000004B00: 24591A90
	v_and_b32_e32 v45, 0xffff0000, v141                        // 000000004B04: 265B1AFF FFFF0000
	v_pk_mul_f32 v[44:45], v[44:45], v[28:29]                  // 000000004B0C: D3B1402C 1802392C
	v_cvt_pk_fp8_f32 v138, v44, v45 op_sel:[0,0,1]             // 000000004B14: D2A2408A 00025B2C
	v_lshlrev_b32_e32 v44, 16, v142                            // 000000004B1C: 24591C90
	v_and_b32_e32 v45, 0xffff0000, v142                        // 000000004B20: 265B1CFF FFFF0000
	v_pk_mul_f32 v[44:45], v[44:45], v[28:29]                  // 000000004B28: D3B1402C 1802392C
	v_cvt_pk_fp8_f32 v139, v44, v45                            // 000000004B30: D2A2008B 00025B2C
	v_lshlrev_b32_e32 v44, 16, v143                            // 000000004B38: 24591E90
	v_and_b32_e32 v45, 0xffff0000, v143                        // 000000004B3C: 265B1EFF FFFF0000
	v_pk_mul_f32 v[44:45], v[44:45], v[28:29]                  // 000000004B44: D3B1402C 1802392C
	v_cvt_pk_fp8_f32 v139, v44, v45 op_sel:[0,0,1]             // 000000004B4C: D2A2408B 00025B2C
	v_lshlrev_b32_e32 v44, 4, v0                               // 000000004B54: 24580084
	v_add_u32_e64 v44, v44, s50                                // 000000004B58: D134002C 0000652C
	ds_write_b128 v44, v[136:139] offset:4224                  // 000000004B60: D9BE1080 0000882C
	v_add_u32_e32 v44, 0x200, v31                              // 000000004B68: 68583EFF 00000200
	s_mov_b64 s[60:61], exec                                   // 000000004B70: BEBC017E
	s_mov_b32 s62, 0xf0f0f0f                                   // 000000004B74: BEBE00FF 0F0F0F0F
	s_mov_b32 s63, 0xf0f0f0f                                   // 000000004B7C: BEBF00FF 0F0F0F0F
	s_mov_b64 exec, s[62:63]                                   // 000000004B84: BEFE013E
	ds_write_b32 v44, v30 offset:8448                          // 000000004B88: D81A2100 00001E2C
	s_mov_b64 exec, s[60:61]                                   // 000000004B90: BEFE013C
	v_mul_f32_dpp v44, v24, v19 row_newbcast:0 row_mask:0xf bank_mask:0xf// 000000004B94: 0A5826FA FF015018
	v_mov_b32_e32 v45, v44                                     // 000000004B9C: 7E5A032C
	v_pk_fma_f32 v[64:65], v[112:113], v[44:45], v[64:65]      // 000000004BA0: D3B04040 1D025970
	v_pk_fma_f32 v[66:67], v[114:115], v[44:45], v[66:67]      // 000000004BA8: D3B04042 1D0A5972
	v_pk_fma_f32 v[72:73], v[120:121], v[44:45], v[72:73]      // 000000004BB0: D3B04048 1D225978
	v_pk_fma_f32 v[74:75], v[122:123], v[44:45], v[74:75]      // 000000004BB8: D3B0404A 1D2A597A
	v_mul_f32_dpp v44, v24, v20 row_newbcast:0 row_mask:0xf bank_mask:0xf// 000000004BC0: 0A5828FA FF015018
	v_mov_b32_e32 v45, v44                                     // 000000004BC8: 7E5A032C
	v_pk_fma_f32 v[68:69], v[116:117], v[44:45], v[68:69]      // 000000004BCC: D3B04044 1D125974
	v_pk_fma_f32 v[70:71], v[118:119], v[44:45], v[70:71]      // 000000004BD4: D3B04046 1D1A5976
	v_pk_fma_f32 v[76:77], v[124:125], v[44:45], v[76:77]      // 000000004BDC: D3B0404C 1D32597C
	v_pk_fma_f32 v[78:79], v[126:127], v[44:45], v[78:79]      // 000000004BE4: D3B0404E 1D3A597E
	s_waitcnt vmcnt(5)                                         // 000000004BEC: BF8C0F75
	v_mfma_f32_16x16x128_f8f6f4 v[112:115], a[48:55], v[168:175], 0// 000000004BF0: D3AD0070 0A035130
	s_waitcnt lgkmcnt(0)                                       // 000000004BF8: BF8CC07F
	s_barrier                                                  // 000000004BFC: BF8A0000
	ds_read_b128 v[128:131], v2                                // 000000004C00: D9FE0000 80000002
	ds_read_b128 v[132:135], v2 offset:64                      // 000000004C08: D9FE0040 84000002
	ds_read_b128 v[136:139], v2 offset:4224                    // 000000004C10: D9FE1080 88000002
	ds_read_b128 v[140:143], v2 offset:4288                    // 000000004C18: D9FE10C0 8C000002
	ds_read_b32 v15, v3 offset:8448                            // 000000004C20: D86C2100 0F000003
	ds_read_b32 v16, v3 offset:8704                            // 000000004C28: D86C2200 10000003
	v_mfma_f32_16x16x128_f8f6f4 v[116:119], a[48:55], v[184:191], 0// 000000004C30: D3AD0074 0A037130
	buffer_load_dwordx4 a[16:19], v34, s[24:27], 0 offen offset:2048// 000000004C38: E05C1800 80861022
	buffer_load_dwordx4 a[20:23], v34, s[24:27], 0 offen offset:3072// 000000004C40: E05C1C00 80861422
	v_mfma_f32_16x16x128_f8f6f4 v[120:123], a[56:63], v[168:175], 0// 000000004C48: D3AD0078 0A035138
	ds_read_b128 v[144:147], v2 offset:512                     // 000000004C50: D9FE0200 90000002
	ds_read_b128 v[148:151], v2 offset:576                     // 000000004C58: D9FE0240 94000002
	ds_read_b128 v[152:155], v2 offset:4736                    // 000000004C60: D9FE1280 98000002
	ds_read_b128 v[156:159], v2 offset:4800                    // 000000004C68: D9FE12C0 9C000002
	ds_read_b32 v17, v3 offset:8960                            // 000000004C70: D86C2300 11000003
	ds_read_b32 v18, v3 offset:9216                            // 000000004C78: D86C2400 12000003
	v_mfma_f32_16x16x128_f8f6f4 v[124:127], a[56:63], v[184:191], 0// 000000004C80: D3AD007C 0A037138
	buffer_load_dwordx4 a[24:27], v35, s[24:27], 0 offen offset:2048// 000000004C88: E05C1800 80861823
	buffer_load_dwordx4 a[28:31], v35, s[24:27], 0 offen offset:3072// 000000004C90: E05C1C00 80861C23
	v_mul_f32_dpp v44, v24, v21 row_newbcast:2 row_mask:0xf bank_mask:0xf// 000000004C98: 0A582AFA FF015218
	v_mov_b32_e32 v45, v44                                     // 000000004CA0: 7E5A032C
	v_pk_fma_f32 v[64:65], v[112:113], v[44:45], v[64:65]      // 000000004CA4: D3B04040 1D025970
	v_pk_fma_f32 v[66:67], v[114:115], v[44:45], v[66:67]      // 000000004CAC: D3B04042 1D0A5972
	v_pk_fma_f32 v[72:73], v[120:121], v[44:45], v[72:73]      // 000000004CB4: D3B04048 1D225978
	v_pk_fma_f32 v[74:75], v[122:123], v[44:45], v[74:75]      // 000000004CBC: D3B0404A 1D2A597A
	v_mul_f32_dpp v44, v24, v22 row_newbcast:2 row_mask:0xf bank_mask:0xf// 000000004CC4: 0A582CFA FF015218
	v_mov_b32_e32 v45, v44                                     // 000000004CCC: 7E5A032C
	v_pk_fma_f32 v[68:69], v[116:117], v[44:45], v[68:69]      // 000000004CD0: D3B04044 1D125974
	v_pk_fma_f32 v[70:71], v[118:119], v[44:45], v[70:71]      // 000000004CD8: D3B04046 1D1A5976
	v_pk_fma_f32 v[76:77], v[124:125], v[44:45], v[76:77]      // 000000004CE0: D3B0404C 1D32597C
	v_pk_fma_f32 v[78:79], v[126:127], v[44:45], v[78:79]      // 000000004CE8: D3B0404E 1D3A597E
	s_add_u32 s60, 0x200, s80                                  // 000000004CF0: 803C50FF 00000200
	s_cmp_lt_u32 s60, s81                                      // 000000004CF8: BF0A513C
	s_cselect_b32 s57, s57, 0                                  // 000000004CFC: 85398039
	s_add_u32 s60, 0x200, s80                                  // 000000004D00: 803C50FF 00000200
	s_cmp_lt_u32 s60, s81                                      // 000000004D08: BF0A513C
	s_cselect_b32 s58, s58, 0                                  // 000000004D0C: 853A803A
	s_add_u32 s20, s57, s20                                    // 000000004D10: 80141439
	s_addc_u32 s21, 0, s21                                     // 000000004D14: 82151580
	s_add_u32 s24, s58, s24                                    // 000000004D18: 8018183A
	s_addc_u32 s25, 0, s25                                     // 000000004D1C: 82191980
	s_add_u32 s92, s90, s92                                    // 000000004D20: 805C5C5A
	s_addc_u32 s93, 0, s93                                     // 000000004D24: 825D5D80
	s_addk_i32 s80, 0x100                                      // 000000004D28: B7500100
	s_cmp_lt_i32 s80, s81                                      // 000000004D2C: BF045150
	s_cbranch_scc0 label_07CE                                  // 000000004D30: BF840001
	s_branch label_03D9                                        // 000000004D34: BF82FC0B

0000000000004d38 <label_07CE>:
	s_mov_b32 s20, 0                                           // 000000004D38: BE940080
	s_cmp_lt_u32 s89, s66                                      // 000000004D3C: BF0A4259
	s_cselect_b32 s60, 0, 1                                    // 000000004D40: 853C8180
	s_lshl1_add_u32 s20, s20, s60                              // 000000004D44: 97143C14
	s_cmp_lt_u32 s88, s66                                      // 000000004D48: BF0A4258
	s_cselect_b32 s60, 0, 1                                    // 000000004D4C: 853C8180
	s_lshl1_add_u32 s20, s20, s60                              // 000000004D50: 97143C14
	s_cmp_lt_u32 s87, s66                                      // 000000004D54: BF0A4257
	s_cselect_b32 s60, 0, 1                                    // 000000004D58: 853C8180
	s_lshl1_add_u32 s20, s20, s60                              // 000000004D5C: 97143C14
	s_cmp_lt_u32 s86, s66                                      // 000000004D60: BF0A4256
	s_cselect_b32 s60, 0, 1                                    // 000000004D64: 853C8180
	s_lshl1_add_u32 s20, s20, s60                              // 000000004D68: 97143C14
	s_cmp_lt_u32 s85, s66                                      // 000000004D6C: BF0A4255
	s_cselect_b32 s60, 0, 1                                    // 000000004D70: 853C8180
	s_lshl1_add_u32 s20, s20, s60                              // 000000004D74: 97143C14
	s_cmp_lt_u32 s84, s66                                      // 000000004D78: BF0A4254
	s_cselect_b32 s60, 0, 1                                    // 000000004D7C: 853C8180
	s_lshl1_add_u32 s20, s20, s60                              // 000000004D80: 97143C14
	s_cmp_lt_u32 s83, s66                                      // 000000004D84: BF0A4253
	s_cselect_b32 s60, 0, 1                                    // 000000004D88: 853C8180
	s_lshl1_add_u32 s20, s20, s60                              // 000000004D8C: 97143C14
	s_cmp_lt_u32 s82, s66                                      // 000000004D90: BF0A4252
	s_cselect_b32 s60, 0, 1                                    // 000000004D94: 853C8180
	s_lshl1_add_u32 s20, s20, s60                              // 000000004D98: 97143C14
	s_waitcnt vmcnt(4)                                         // 000000004D9C: BF8C0F74
	buffer_load_dwordx4 a[0:3], v36, s[12:15], 0 offen         // 000000004DA0: E05C1000 80830024
	v_mul_f32_e32 v44, v96, v96                                // 000000004DA8: 0A58C160
	v_mul_f32_e32 v45, v97, v97                                // 000000004DAC: 0A5AC361
	v_mul_f32_e32 v46, v98, v98                                // 000000004DB0: 0A5CC562
	v_mul_f32_e32 v47, v99, v99                                // 000000004DB4: 0A5EC763
	v_fma_f32 v44, v44, s77, v1                                // 000000004DB8: D1CB002C 04049B2C
	v_fma_f32 v45, v45, s77, v1                                // 000000004DC0: D1CB002D 04049B2D
	v_fma_f32 v46, v46, s77, v1                                // 000000004DC8: D1CB002E 04049B2E
	v_fma_f32 v47, v47, s77, v1                                // 000000004DD0: D1CB002F 04049B2F
	v_mul_f32_e32 v44, v44, v96                                // 000000004DD8: 0A58C12C
	v_mul_f32_e32 v45, v45, v97                                // 000000004DDC: 0A5AC32D
	v_mul_f32_e32 v46, v46, v98                                // 000000004DE0: 0A5CC52E
	v_mul_f32_e32 v47, v47, v99                                // 000000004DE4: 0A5EC72F
	v_mul_f32_e64 v44, v44, s6                                 // 000000004DE8: D105002C 00000D2C
	v_mul_f32_e64 v45, v45, s6                                 // 000000004DF0: D105002D 00000D2D
	v_mul_f32_e64 v46, v46, s6                                 // 000000004DF8: D105002E 00000D2E
	v_mul_f32_e64 v47, v47, s6                                 // 000000004E00: D105002F 00000D2F
	v_exp_f32_e32 v44, v44                                     // 000000004E08: 7E58412C
	v_exp_f32_e32 v45, v45                                     // 000000004E0C: 7E5A412D
	v_exp_f32_e32 v46, v46                                     // 000000004E10: 7E5C412E
	v_exp_f32_e32 v47, v47                                     // 000000004E14: 7E5E412F
	buffer_load_dwordx4 a[4:7], v36, s[12:15], 0 offen offset:1024// 000000004E18: E05C1400 80830424
	v_add_f32_e64 v44, v44, 1.0                                // 000000004E20: D101002C 0001E52C
	v_add_f32_e64 v45, v45, 1.0                                // 000000004E28: D101002D 0001E52D
	v_add_f32_e64 v46, v46, 1.0                                // 000000004E30: D101002E 0001E52E
	v_add_f32_e64 v47, v47, 1.0                                // 000000004E38: D101002F 0001E52F
	v_rcp_f32_e32 v44, v44                                     // 000000004E40: 7E58452C
	v_rcp_f32_e32 v45, v45                                     // 000000004E44: 7E5A452D
	v_rcp_f32_e32 v46, v46                                     // 000000004E48: 7E5C452E
	v_rcp_f32_e32 v47, v47                                     // 000000004E4C: 7E5E452F
	v_mul_f32_e32 v96, v96, v44                                // 000000004E50: 0AC05960
	v_mul_f32_e32 v97, v97, v45                                // 000000004E54: 0AC25B61
	v_mul_f32_e32 v98, v98, v46                                // 000000004E58: 0AC45D62
	v_mul_f32_e32 v99, v99, v47                                // 000000004E5C: 0AC65F63
	v_mul_f32_e32 v96, v96, v64                                // 000000004E60: 0AC08160
	v_mul_f32_e32 v97, v97, v65                                // 000000004E64: 0AC28361
	v_mul_f32_e32 v98, v98, v66                                // 000000004E68: 0AC48562
	v_mul_f32_e32 v99, v99, v67                                // 000000004E6C: 0AC68763
	buffer_load_dwordx4 a[8:11], v37, s[12:15], 0 offen        // 000000004E70: E05C1000 80830825
	v_mul_f32_e32 v44, v100, v100                              // 000000004E78: 0A58C964
	v_mul_f32_e32 v45, v101, v101                              // 000000004E7C: 0A5ACB65
	v_mul_f32_e32 v46, v102, v102                              // 000000004E80: 0A5CCD66
	v_mul_f32_e32 v47, v103, v103                              // 000000004E84: 0A5ECF67
	v_fma_f32 v44, v44, s77, v1                                // 000000004E88: D1CB002C 04049B2C
	v_fma_f32 v45, v45, s77, v1                                // 000000004E90: D1CB002D 04049B2D
	v_fma_f32 v46, v46, s77, v1                                // 000000004E98: D1CB002E 04049B2E
	v_fma_f32 v47, v47, s77, v1                                // 000000004EA0: D1CB002F 04049B2F
	v_mul_f32_e32 v44, v44, v100                               // 000000004EA8: 0A58C92C
	v_mul_f32_e32 v45, v45, v101                               // 000000004EAC: 0A5ACB2D
	v_mul_f32_e32 v46, v46, v102                               // 000000004EB0: 0A5CCD2E
	v_mul_f32_e32 v47, v47, v103                               // 000000004EB4: 0A5ECF2F
	v_mul_f32_e64 v44, v44, s6                                 // 000000004EB8: D105002C 00000D2C
	v_mul_f32_e64 v45, v45, s6                                 // 000000004EC0: D105002D 00000D2D
	v_mul_f32_e64 v46, v46, s6                                 // 000000004EC8: D105002E 00000D2E
	v_mul_f32_e64 v47, v47, s6                                 // 000000004ED0: D105002F 00000D2F
	v_exp_f32_e32 v44, v44                                     // 000000004ED8: 7E58412C
	v_exp_f32_e32 v45, v45                                     // 000000004EDC: 7E5A412D
	v_exp_f32_e32 v46, v46                                     // 000000004EE0: 7E5C412E
	v_exp_f32_e32 v47, v47                                     // 000000004EE4: 7E5E412F
	buffer_load_dwordx4 a[12:15], v37, s[12:15], 0 offen offset:1024// 000000004EE8: E05C1400 80830C25
	v_add_f32_e64 v44, v44, 1.0                                // 000000004EF0: D101002C 0001E52C
	v_add_f32_e64 v45, v45, 1.0                                // 000000004EF8: D101002D 0001E52D
	v_add_f32_e64 v46, v46, 1.0                                // 000000004F00: D101002E 0001E52E
	v_add_f32_e64 v47, v47, 1.0                                // 000000004F08: D101002F 0001E52F
	v_rcp_f32_e32 v44, v44                                     // 000000004F10: 7E58452C
	v_rcp_f32_e32 v45, v45                                     // 000000004F14: 7E5A452D
	v_rcp_f32_e32 v46, v46                                     // 000000004F18: 7E5C452E
	v_rcp_f32_e32 v47, v47                                     // 000000004F1C: 7E5E452F
	v_mul_f32_e32 v100, v100, v44                              // 000000004F20: 0AC85964
	v_mul_f32_e32 v101, v101, v45                              // 000000004F24: 0ACA5B65
	v_mul_f32_e32 v102, v102, v46                              // 000000004F28: 0ACC5D66
	v_mul_f32_e32 v103, v103, v47                              // 000000004F2C: 0ACE5F67
	v_mul_f32_e32 v100, v100, v68                              // 000000004F30: 0AC88964
	v_mul_f32_e32 v101, v101, v69                              // 000000004F34: 0ACA8B65
	v_mul_f32_e32 v102, v102, v70                              // 000000004F38: 0ACC8D66
	v_mul_f32_e32 v103, v103, v71                              // 000000004F3C: 0ACE8F67
	s_waitcnt vmcnt(4)                                         // 000000004F40: BF8C0F74
	buffer_load_dwordx4 a[16:19], v38, s[12:15], 0 offen       // 000000004F44: E05C1000 80831026
	v_mul_f32_e32 v44, v104, v104                              // 000000004F4C: 0A58D168
	v_mul_f32_e32 v45, v105, v105                              // 000000004F50: 0A5AD369
	v_mul_f32_e32 v46, v106, v106                              // 000000004F54: 0A5CD56A
	v_mul_f32_e32 v47, v107, v107                              // 000000004F58: 0A5ED76B
	v_fma_f32 v44, v44, s77, v1                                // 000000004F5C: D1CB002C 04049B2C
	v_fma_f32 v45, v45, s77, v1                                // 000000004F64: D1CB002D 04049B2D
	v_fma_f32 v46, v46, s77, v1                                // 000000004F6C: D1CB002E 04049B2E
	v_fma_f32 v47, v47, s77, v1                                // 000000004F74: D1CB002F 04049B2F
	v_mul_f32_e32 v44, v44, v104                               // 000000004F7C: 0A58D12C
	v_mul_f32_e32 v45, v45, v105                               // 000000004F80: 0A5AD32D
	v_mul_f32_e32 v46, v46, v106                               // 000000004F84: 0A5CD52E
	v_mul_f32_e32 v47, v47, v107                               // 000000004F88: 0A5ED72F
	v_mul_f32_e64 v44, v44, s6                                 // 000000004F8C: D105002C 00000D2C
	v_mul_f32_e64 v45, v45, s6                                 // 000000004F94: D105002D 00000D2D
	v_mul_f32_e64 v46, v46, s6                                 // 000000004F9C: D105002E 00000D2E
	v_mul_f32_e64 v47, v47, s6                                 // 000000004FA4: D105002F 00000D2F
	v_exp_f32_e32 v44, v44                                     // 000000004FAC: 7E58412C
	v_exp_f32_e32 v45, v45                                     // 000000004FB0: 7E5A412D
	v_exp_f32_e32 v46, v46                                     // 000000004FB4: 7E5C412E
	v_exp_f32_e32 v47, v47                                     // 000000004FB8: 7E5E412F
	buffer_load_dwordx4 a[20:23], v38, s[12:15], 0 offen offset:1024// 000000004FBC: E05C1400 80831426
	v_add_f32_e64 v44, v44, 1.0                                // 000000004FC4: D101002C 0001E52C
	v_add_f32_e64 v45, v45, 1.0                                // 000000004FCC: D101002D 0001E52D
	v_add_f32_e64 v46, v46, 1.0                                // 000000004FD4: D101002E 0001E52E
	v_add_f32_e64 v47, v47, 1.0                                // 000000004FDC: D101002F 0001E52F
	v_rcp_f32_e32 v44, v44                                     // 000000004FE4: 7E58452C
	v_rcp_f32_e32 v45, v45                                     // 000000004FE8: 7E5A452D
	v_rcp_f32_e32 v46, v46                                     // 000000004FEC: 7E5C452E
	v_rcp_f32_e32 v47, v47                                     // 000000004FF0: 7E5E452F
	v_mul_f32_e32 v104, v104, v44                              // 000000004FF4: 0AD05968
	v_mul_f32_e32 v105, v105, v45                              // 000000004FF8: 0AD25B69
	v_mul_f32_e32 v106, v106, v46                              // 000000004FFC: 0AD45D6A
	v_mul_f32_e32 v107, v107, v47                              // 000000005000: 0AD65F6B
	v_mul_f32_e32 v104, v104, v72                              // 000000005004: 0AD09168
	v_mul_f32_e32 v105, v105, v73                              // 000000005008: 0AD29369
	v_mul_f32_e32 v106, v106, v74                              // 00000000500C: 0AD4956A
	v_mul_f32_e32 v107, v107, v75                              // 000000005010: 0AD6976B
	buffer_load_dwordx4 a[24:27], v39, s[12:15], 0 offen       // 000000005014: E05C1000 80831827
	v_mul_f32_e32 v44, v108, v108                              // 00000000501C: 0A58D96C
	v_mul_f32_e32 v45, v109, v109                              // 000000005020: 0A5ADB6D
	v_mul_f32_e32 v46, v110, v110                              // 000000005024: 0A5CDD6E
	v_mul_f32_e32 v47, v111, v111                              // 000000005028: 0A5EDF6F
	v_fma_f32 v44, v44, s77, v1                                // 00000000502C: D1CB002C 04049B2C
	v_fma_f32 v45, v45, s77, v1                                // 000000005034: D1CB002D 04049B2D
	v_fma_f32 v46, v46, s77, v1                                // 00000000503C: D1CB002E 04049B2E
	v_fma_f32 v47, v47, s77, v1                                // 000000005044: D1CB002F 04049B2F
	v_mul_f32_e32 v44, v44, v108                               // 00000000504C: 0A58D92C
	v_mul_f32_e32 v45, v45, v109                               // 000000005050: 0A5ADB2D
	v_mul_f32_e32 v46, v46, v110                               // 000000005054: 0A5CDD2E
	v_mul_f32_e32 v47, v47, v111                               // 000000005058: 0A5EDF2F
	v_mul_f32_e64 v44, v44, s6                                 // 00000000505C: D105002C 00000D2C
	v_mul_f32_e64 v45, v45, s6                                 // 000000005064: D105002D 00000D2D
	v_mul_f32_e64 v46, v46, s6                                 // 00000000506C: D105002E 00000D2E
	v_mul_f32_e64 v47, v47, s6                                 // 000000005074: D105002F 00000D2F
	v_exp_f32_e32 v44, v44                                     // 00000000507C: 7E58412C
	v_exp_f32_e32 v45, v45                                     // 000000005080: 7E5A412D
	v_exp_f32_e32 v46, v46                                     // 000000005084: 7E5C412E
	v_exp_f32_e32 v47, v47                                     // 000000005088: 7E5E412F
	buffer_load_dwordx4 a[28:31], v39, s[12:15], 0 offen offset:1024// 00000000508C: E05C1400 80831C27
	v_add_f32_e64 v44, v44, 1.0                                // 000000005094: D101002C 0001E52C
	v_add_f32_e64 v45, v45, 1.0                                // 00000000509C: D101002D 0001E52D
	v_add_f32_e64 v46, v46, 1.0                                // 0000000050A4: D101002E 0001E52E
	v_add_f32_e64 v47, v47, 1.0                                // 0000000050AC: D101002F 0001E52F
	v_rcp_f32_e32 v44, v44                                     // 0000000050B4: 7E58452C
	v_rcp_f32_e32 v45, v45                                     // 0000000050B8: 7E5A452D
	v_rcp_f32_e32 v46, v46                                     // 0000000050BC: 7E5C452E
	v_rcp_f32_e32 v47, v47                                     // 0000000050C0: 7E5E452F
	v_mul_f32_e32 v108, v108, v44                              // 0000000050C4: 0AD8596C
	v_mul_f32_e32 v109, v109, v45                              // 0000000050C8: 0ADA5B6D
	v_mul_f32_e32 v110, v110, v46                              // 0000000050CC: 0ADC5D6E
	v_mul_f32_e32 v111, v111, v47                              // 0000000050D0: 0ADE5F6F
	v_mul_f32_e32 v108, v108, v76                              // 0000000050D4: 0AD8996C
	v_mul_f32_e32 v109, v109, v77                              // 0000000050D8: 0ADA9B6D
	v_mul_f32_e32 v110, v110, v78                              // 0000000050DC: 0ADC9D6E
	v_mul_f32_e32 v111, v111, v79                              // 0000000050E0: 0ADE9F6F
	v_lshlrev_b32_e32 v44, 2, v0                               // 0000000050E4: 24580082
	s_mul_i32 s60, s82, s71                                    // 0000000050E8: 923C4752
	v_add_u32_e64 v80, v44, s60                                // 0000000050EC: D1340050 0000792C
	v_mov_b32_e32 v81, 0                                       // 0000000050F4: 7EA20280
	s_mul_i32 s60, s83, s71                                    // 0000000050F8: 923C4753
	v_add_u32_e64 v82, v44, s60                                // 0000000050FC: D1340052 0000792C
	v_mov_b32_e32 v83, 0                                       // 000000005104: 7EA60280
	s_mul_i32 s60, s84, s71                                    // 000000005108: 923C4754
	v_add_u32_e64 v84, v44, s60                                // 00000000510C: D1340054 0000792C
	v_mov_b32_e32 v85, 0                                       // 000000005114: 7EAA0280
	s_mul_i32 s60, s85, s71                                    // 000000005118: 923C4755
	v_add_u32_e64 v86, v44, s60                                // 00000000511C: D1340056 0000792C
	v_mov_b32_e32 v87, 0                                       // 000000005124: 7EAE0280
	s_mul_i32 s60, s86, s71                                    // 000000005128: 923C4756
	v_add_u32_e64 v88, v44, s60                                // 00000000512C: D1340058 0000792C
	v_mov_b32_e32 v89, 0                                       // 000000005134: 7EB20280
	s_mul_i32 s60, s87, s71                                    // 000000005138: 923C4757
	v_add_u32_e64 v90, v44, s60                                // 00000000513C: D134005A 0000792C
	v_mov_b32_e32 v91, 0                                       // 000000005144: 7EB60280
	s_mul_i32 s60, s88, s71                                    // 000000005148: 923C4758
	v_add_u32_e64 v92, v44, s60                                // 00000000514C: D134005C 0000792C
	v_mov_b32_e32 v93, 0                                       // 000000005154: 7EBA0280
	s_mul_i32 s60, s89, s71                                    // 000000005158: 923C4759
	v_add_u32_e64 v94, v44, s60                                // 00000000515C: D134005E 0000792C
	v_mov_b32_e32 v95, 0                                       // 000000005164: 7EBE0280
	buffer_load_dword v23, v6, s[16:19], 0 offen               // 000000005168: E0501000 80041706
	v_mov_b32_e32 v28, 0x358637bd                              // 000000005170: 7E3802FF 358637BD
	v_mov_b32_e32 v29, 0x358637bd                              // 000000005178: 7E3A02FF 358637BD
	v_max3_f32 v28, |v96|, |v97|, v28                          // 000000005180: D1D3031C 0472C360
	v_max3_f32 v28, |v98|, |v99|, v28                          // 000000005188: D1D3031C 0472C762
	v_max3_f32 v29, |v100|, |v101|, v29                        // 000000005190: D1D3031D 0476CB64
	v_max3_f32 v29, |v102|, |v103|, v29                        // 000000005198: D1D3031D 0476CF66
	v_max3_f32 v28, |v104|, |v105|, v28                        // 0000000051A0: D1D3031C 0472D368
	v_max3_f32 v28, |v106|, |v107|, v28                        // 0000000051A8: D1D3031C 0472D76A
	v_max3_f32 v29, |v108|, |v109|, v29                        // 0000000051B0: D1D3031D 0476DB6C
	v_max3_f32 v29, |v110|, |v111|, v29                        // 0000000051B8: D1D3031D 0476DF6E
	v_mov_b32_e32 v44, v28                                     // 0000000051C0: 7E58031C
	s_nop 1                                                    // 0000000051C4: BF800001
	v_permlane32_swap_b32_e32 v44, v28                         // 0000000051C8: 7E58B51C
	v_max_f32_e32 v28, v44, v28                                // 0000000051CC: 1638392C
	v_mov_b32_e32 v44, v28                                     // 0000000051D0: 7E58031C
	s_nop 1                                                    // 0000000051D4: BF800001
	v_permlane16_swap_b32_e32 v44, v28                         // 0000000051D8: 7E58B31C
	v_max_f32_e32 v28, v44, v28                                // 0000000051DC: 1638392C
	v_mov_b32_e32 v44, v29                                     // 0000000051E0: 7E58031D
	s_nop 1                                                    // 0000000051E4: BF800001
	v_permlane32_swap_b32_e32 v44, v29                         // 0000000051E8: 7E58B51D
	v_max_f32_e32 v29, v44, v29                                // 0000000051EC: 163A3B2C
	v_mov_b32_e32 v44, v29                                     // 0000000051F0: 7E58031D
	s_nop 1                                                    // 0000000051F4: BF800001
	v_permlane16_swap_b32_e32 v44, v29                         // 0000000051F8: 7E58B31D
	v_max_f32_e32 v29, v44, v29                                // 0000000051FC: 163A3B2C
	v_lshlrev_b32_e32 v44, 2, v0                               // 000000005200: 24580082
	s_mul_i32 s60, 64, s7                                      // 000000005204: 923C07C0
	v_add_u32_e32 v44, s60, v44                                // 000000005208: 6858583C
	s_mov_b32 s60, 0xffff                                      // 00000000520C: BEBC00FF 0000FFFF
	s_mov_b32 s61, 0                                           // 000000005214: BEBD0080
	s_mov_b64 exec, s[60:61]                                   // 000000005218: BEFE013C
	ds_write_b32 v44, v28 offset:18944                         // 00000000521C: D81A4A00 00001C2C
	ds_write_b32 v44, v29 offset:19200                         // 000000005224: D81A4B00 00001D2C
	s_mov_b32 s60, -1                                          // 00000000522C: BEBC00C1
	s_mov_b32 s61, -1                                          // 000000005230: BEBD00C1
	s_mov_b64 exec, s[60:61]                                   // 000000005234: BEFE013C
	s_waitcnt lgkmcnt(0)                                       // 000000005238: BF8CC07F
	s_barrier                                                  // 00000000523C: BF8A0000
	v_lshlrev_b32_e32 v44, 2, v0                               // 000000005240: 24580082
	ds_read_b32 v112, v44 offset:18944                         // 000000005244: D86C4A00 7000002C
	ds_read_b32 v113, v44 offset:19200                         // 00000000524C: D86C4B00 7100002C
	s_waitcnt lgkmcnt(0)                                       // 000000005254: BF8CC07F
	v_mov_b32_e32 v44, v112                                    // 000000005258: 7E580370
	s_nop 1                                                    // 00000000525C: BF800001
	v_permlane32_swap_b32_e32 v44, v112                        // 000000005260: 7E58B570
	v_max_f32_e32 v112, v44, v112                              // 000000005264: 16E0E12C
	v_mov_b32_e32 v44, v112                                    // 000000005268: 7E580370
	s_nop 1                                                    // 00000000526C: BF800001
	v_permlane16_swap_b32_e32 v44, v112                        // 000000005270: 7E58B370
	v_max_f32_e32 v112, v44, v112                              // 000000005274: 16E0E12C
	v_mov_b32_e32 v44, v113                                    // 000000005278: 7E580371
	s_nop 1                                                    // 00000000527C: BF800001
	v_permlane32_swap_b32_e32 v44, v113                        // 000000005280: 7E58B571
	v_max_f32_e32 v113, v44, v113                              // 000000005284: 16E2E32C
	v_mov_b32_e32 v44, v113                                    // 000000005288: 7E580371
	s_nop 1                                                    // 00000000528C: BF800001
	v_permlane16_swap_b32_e32 v44, v113                        // 000000005290: 7E58B371
	v_max_f32_e32 v113, v44, v113                              // 000000005294: 16E2E32C
	v_max_f32_e32 v28, v112, v28                               // 000000005298: 16383970
	v_max_f32_e32 v29, v113, v29                               // 00000000529C: 163A3B71
	v_rcp_f32_e32 v28, v28                                     // 0000000052A0: 7E38451C
	v_rcp_f32_e32 v29, v29                                     // 0000000052A4: 7E3A451D
	v_mov_b32_e32 v44, 0x43e00000                              // 0000000052A8: 7E5802FF 43E00000
	v_mul_f32_e32 v28, v44, v28                                // 0000000052B0: 0A38392C
	v_mul_f32_e32 v29, v44, v29                                // 0000000052B4: 0A3A3B2C
	v_mul_f32_e32 v96, v28, v96                                // 0000000052B8: 0AC0C11C
	v_mul_f32_e32 v97, v28, v97                                // 0000000052BC: 0AC2C31C
	v_mul_f32_e32 v98, v28, v98                                // 0000000052C0: 0AC4C51C
	v_mul_f32_e32 v99, v28, v99                                // 0000000052C4: 0AC6C71C
	v_cvt_pk_fp8_f32 v96, v96, v97                             // 0000000052C8: D2A20060 0002C360
	v_cvt_pk_fp8_f32 v96, v98, v99 op_sel:[0,0,1]              // 0000000052D0: D2A24060 0002C762
	v_mul_f32_e32 v100, v29, v100                              // 0000000052D8: 0AC8C91D
	v_mul_f32_e32 v101, v29, v101                              // 0000000052DC: 0ACACB1D
	v_mul_f32_e32 v102, v29, v102                              // 0000000052E0: 0ACCCD1D
	v_mul_f32_e32 v103, v29, v103                              // 0000000052E4: 0ACECF1D
	v_cvt_pk_fp8_f32 v97, v100, v101                           // 0000000052E8: D2A20061 0002CB64
	v_cvt_pk_fp8_f32 v97, v102, v103 op_sel:[0,0,1]            // 0000000052F0: D2A24061 0002CF66
	v_mul_f32_e32 v104, v28, v104                              // 0000000052F8: 0AD0D11C
	v_mul_f32_e32 v105, v28, v105                              // 0000000052FC: 0AD2D31C
	v_mul_f32_e32 v106, v28, v106                              // 000000005300: 0AD4D51C
	v_mul_f32_e32 v107, v28, v107                              // 000000005304: 0AD6D71C
	v_cvt_pk_fp8_f32 v98, v104, v105                           // 000000005308: D2A20062 0002D368
	v_cvt_pk_fp8_f32 v98, v106, v107 op_sel:[0,0,1]            // 000000005310: D2A24062 0002D76A
	v_mul_f32_e32 v108, v29, v108                              // 000000005318: 0AD8D91D
	v_mul_f32_e32 v109, v29, v109                              // 00000000531C: 0ADADB1D
	v_mul_f32_e32 v110, v29, v110                              // 000000005320: 0ADCDD1D
	v_mul_f32_e32 v111, v29, v111                              // 000000005324: 0ADEDF1D
	v_cvt_pk_fp8_f32 v99, v108, v109                           // 000000005328: D2A20063 0002DB6C
	v_cvt_pk_fp8_f32 v99, v110, v111 op_sel:[0,0,1]            // 000000005330: D2A24063 0002DF6E
	v_rcp_f32_e32 v30, v28                                     // 000000005338: 7E3C451C
	v_rcp_f32_e32 v31, v29                                     // 00000000533C: 7E3E451D
	v_lshrrev_b32_e32 v44, 5, v0                               // 000000005340: 20580085
	v_lshlrev_b32_e32 v45, 6, v44                              // 000000005344: 245A5886
	v_and_b32_e32 v44, 31, v0                                  // 000000005348: 2658009F
	v_lshrrev_b32_e32 v46, 4, v44                              // 00000000534C: 205C5884
	v_add_u32_e32 v45, v46, v45                                // 000000005350: 685A5B2E
	v_and_b32_e32 v44, 15, v0                                  // 000000005354: 2658008F
	v_lshlrev_b32_e32 v44, 1, v44                              // 000000005358: 24585881
	v_add_u32_e32 v45, v44, v45                                // 00000000535C: 685A5B2C
	v_lshlrev_b32_e32 v44, 2, v45                              // 000000005360: 24585A82
	s_mov_b32 s60, 0                                           // 000000005364: BEBC0080
	s_lshr_b32 s61, s7, 1                                      // 000000005368: 8F3D8107
	s_mul_i32 s61, s61, 0x200                                  // 00000000536C: 923DFF3D 00000200
	s_add_u32 s60, s61, s60                                    // 000000005374: 803C3C3D
	s_and_b32 s61, s7, 1                                       // 000000005378: 863D8107
	s_mul_i32 s61, s61, 0x80                                   // 00000000537C: 923DFF3D 00000080
	s_add_u32 s60, s61, s60                                    // 000000005384: 803C3C3D
	v_add_u32_e64 v44, v44, s60                                // 000000005388: D134002C 0000792C
	ds_write_b32 v44, v96 offset:20992                         // 000000005390: D81A5200 0000602C
	ds_write_b32 v44, v97 offset:23040                         // 000000005398: D81A5A00 0000612C
	ds_write_b32 v44, v98 offset:22016                         // 0000000053A0: D81A5600 0000622C
	ds_write_b32 v44, v99 offset:24064                         // 0000000053A8: D81A5E00 0000632C
	s_waitcnt lgkmcnt(0)                                       // 0000000053B0: BF8CC07F
	s_barrier                                                  // 0000000053B4: BF8A0000
	v_and_b32_e32 v44, 31, v0                                  // 0000000053B8: 2658009F
	v_lshrrev_b32_e32 v44, 4, v44                              // 0000000053BC: 20585884
	v_lshlrev_b32_e32 v45, 5, v44                              // 0000000053C0: 245A5885
	v_lshrrev_b32_e32 v44, 5, v0                               // 0000000053C4: 20580085
	v_lshlrev_b32_e32 v44, 7, v44                              // 0000000053C8: 24585887
	v_add_u32_e32 v45, v44, v45                                // 0000000053CC: 685A5B2C
	v_and_b32_e32 v44, 15, v0                                  // 0000000053D0: 2658008F
	v_lshlrev_b32_e32 v44, 1, v44                              // 0000000053D4: 24585881
	v_add_u32_e32 v45, v44, v45                                // 0000000053D8: 685A5B2C
	v_lshlrev_b32_e32 v44, 2, v45                              // 0000000053DC: 24585A82
	ds_read_b64 v[96:97], v44 offset:20992                     // 0000000053E0: D8EC5200 6000002C
	ds_read_b64 v[98:99], v44 offset:21248                     // 0000000053E8: D8EC5300 6200002C
	ds_read_b64 v[100:101], v44 offset:22016                   // 0000000053F0: D8EC5600 6400002C
	ds_read_b64 v[102:103], v44 offset:22272                   // 0000000053F8: D8EC5700 6600002C
	ds_read_b64 v[104:105], v44 offset:23040                   // 000000005400: D8EC5A00 6800002C
	ds_read_b64 v[106:107], v44 offset:23296                   // 000000005408: D8EC5B00 6A00002C
	ds_read_b64 v[108:109], v44 offset:24064                   // 000000005410: D8EC5E00 6C00002C
	ds_read_b64 v[110:111], v44 offset:24320                   // 000000005418: D8EC5F00 6E00002C
	s_add_u32 s12, s56, s12                                    // 000000005420: 800C0C38
	s_addc_u32 s13, 0, s13                                     // 000000005424: 820D0D80
	s_add_u32 s16, s79, s16                                    // 000000005428: 8010104F
	s_addc_u32 s17, 0, s17                                     // 00000000542C: 82111180
	s_waitcnt lgkmcnt(0)                                       // 000000005430: BF8CC07F
	s_barrier                                                  // 000000005434: BF8A0000
	v_mov_b32_e32 v128, 0                                      // 000000005438: 7F000280
	v_mov_b32_e32 v160, 0                                      // 00000000543C: 7F400280
	v_mov_b32_e32 v129, 0                                      // 000000005440: 7F020280
	v_mov_b32_e32 v161, 0                                      // 000000005444: 7F420280
	v_mov_b32_e32 v130, 0                                      // 000000005448: 7F040280
	v_mov_b32_e32 v162, 0                                      // 00000000544C: 7F440280
	v_mov_b32_e32 v131, 0                                      // 000000005450: 7F060280
	v_mov_b32_e32 v163, 0                                      // 000000005454: 7F460280
	v_mov_b32_e32 v132, 0                                      // 000000005458: 7F080280
	v_mov_b32_e32 v164, 0                                      // 00000000545C: 7F480280
	v_mov_b32_e32 v133, 0                                      // 000000005460: 7F0A0280
	v_mov_b32_e32 v165, 0                                      // 000000005464: 7F4A0280
	v_mov_b32_e32 v134, 0                                      // 000000005468: 7F0C0280
	v_mov_b32_e32 v166, 0                                      // 00000000546C: 7F4C0280
	v_mov_b32_e32 v135, 0                                      // 000000005470: 7F0E0280
	v_mov_b32_e32 v167, 0                                      // 000000005474: 7F4E0280
	v_mov_b32_e32 v136, 0                                      // 000000005478: 7F100280
	v_mov_b32_e32 v168, 0                                      // 00000000547C: 7F500280
	v_mov_b32_e32 v137, 0                                      // 000000005480: 7F120280
	v_mov_b32_e32 v169, 0                                      // 000000005484: 7F520280
	v_mov_b32_e32 v138, 0                                      // 000000005488: 7F140280
	v_mov_b32_e32 v170, 0                                      // 00000000548C: 7F540280
	v_mov_b32_e32 v139, 0                                      // 000000005490: 7F160280
	v_mov_b32_e32 v171, 0                                      // 000000005494: 7F560280
	v_mov_b32_e32 v140, 0                                      // 000000005498: 7F180280
	v_mov_b32_e32 v172, 0                                      // 00000000549C: 7F580280
	v_mov_b32_e32 v141, 0                                      // 0000000054A0: 7F1A0280
	v_mov_b32_e32 v173, 0                                      // 0000000054A4: 7F5A0280
	v_mov_b32_e32 v142, 0                                      // 0000000054A8: 7F1C0280
	v_mov_b32_e32 v174, 0                                      // 0000000054AC: 7F5C0280
	v_mov_b32_e32 v143, 0                                      // 0000000054B0: 7F1E0280
	v_mov_b32_e32 v175, 0                                      // 0000000054B4: 7F5E0280
	ds_write_b64 v4, v[128:129] offset:20992                   // 0000000054B8: D89A5200 00008004
	ds_write_b64 v4, v[130:131] offset:29696                   // 0000000054C0: D89A7400 00008204
	ds_write_b64 v4, v[132:133] offset:23168                   // 0000000054C8: D89A5A80 00008404
	ds_write_b64 v4, v[134:135] offset:31872                   // 0000000054D0: D89A7C80 00008604
	ds_write_b64 v4, v[136:137] offset:25344                   // 0000000054D8: D89A6300 00008804
	ds_write_b64 v4, v[138:139] offset:34048                   // 0000000054E0: D89A8500 00008A04
	ds_write_b64 v4, v[140:141] offset:27520                   // 0000000054E8: D89A6B80 00008C04
	ds_write_b64 v4, v[142:143] offset:36224                   // 0000000054F0: D89A8D80 00008E04
	s_mov_b32 s80, 0                                           // 0000000054F8: BED00080
	s_waitcnt vmcnt(0) expcnt(0) lgkmcnt(0)                    // 0000000054FC: BF8C0000

0000000000005500 <label_09C0>:
	s_waitcnt vmcnt(4) lgkmcnt(0)                              // 000000005500: BF8C0074
	s_barrier                                                  // 000000005504: BF8A0000
	v_mfma_f32_16x16x128_f8f6f4 v[128:131], a[0:7], v[96:103], 0// 000000005508: D3AD0080 0A02C100
	ds_read_b32 v64, v5 offset:20992                           // 000000005510: D86C5200 40000005
	ds_read_b32 v65, v5 offset:25344                           // 000000005518: D86C6300 41000005
	ds_read_b32 v66, v5 offset:21000                           // 000000005520: D86C5208 42000005
	ds_read_b32 v67, v5 offset:25352                           // 000000005528: D86C6308 43000005
	v_mfma_f32_16x16x128_f8f6f4 v[132:135], a[0:7], v[104:111], 0// 000000005530: D3AD0084 0A02D100
	buffer_load_dwordx4 a[32:35], v36, s[12:15], 0 offen       // 000000005538: E05C1000 80832024
	buffer_load_dwordx4 a[36:39], v36, s[12:15], 0 offen offset:1024// 000000005540: E05C1400 80832424
	v_mfma_f32_16x16x128_f8f6f4 v[136:139], a[8:15], v[96:103], 0// 000000005548: D3AD0088 0A02C108
	ds_read_b32 v68, v5 offset:21024                           // 000000005550: D86C5220 44000005
	ds_read_b32 v69, v5 offset:25376                           // 000000005558: D86C6320 45000005
	ds_read_b32 v70, v5 offset:21032                           // 000000005560: D86C5228 46000005
	ds_read_b32 v71, v5 offset:25384                           // 000000005568: D86C6328 47000005
	v_mfma_f32_16x16x128_f8f6f4 v[140:143], a[8:15], v[104:111], 0// 000000005570: D3AD008C 0A02D108
	buffer_load_dwordx4 a[40:43], v37, s[12:15], 0 offen       // 000000005578: E05C1000 80832825
	buffer_load_dwordx4 a[44:47], v37, s[12:15], 0 offen offset:1024// 000000005580: E05C1400 80832C25
	buffer_load_dword v24, v6, s[16:19], 0 offen               // 000000005588: E0501000 80041806
	s_waitcnt vmcnt(5)                                         // 000000005590: BF8C0F75
	v_mfma_f32_16x16x128_f8f6f4 v[144:147], a[16:23], v[96:103], 0// 000000005594: D3AD0090 0A02C110
	ds_read_b32 v72, v5 offset:29696                           // 00000000559C: D86C7400 48000005
	ds_read_b32 v73, v5 offset:34048                           // 0000000055A4: D86C8500 49000005
	ds_read_b32 v74, v5 offset:29704                           // 0000000055AC: D86C7408 4A000005
	ds_read_b32 v75, v5 offset:34056                           // 0000000055B4: D86C8508 4B000005
	ds_write_b64 v4, v[160:161] offset:38400                   // 0000000055BC: D89A9600 0000A004
	ds_write_b64 v4, v[162:163] offset:47104                   // 0000000055C4: D89AB800 0000A204
	ds_write_b64 v4, v[164:165] offset:40576                   // 0000000055CC: D89A9E80 0000A404
	ds_write_b64 v4, v[166:167] offset:49280                   // 0000000055D4: D89AC080 0000A604
	v_mfma_f32_16x16x128_f8f6f4 v[148:151], a[16:23], v[104:111], 0// 0000000055DC: D3AD0094 0A02D110
	buffer_load_dwordx4 a[48:51], v38, s[12:15], 0 offen       // 0000000055E4: E05C1000 80833026
	buffer_load_dwordx4 a[52:55], v38, s[12:15], 0 offen offset:1024// 0000000055EC: E05C1400 80833426
	v_mfma_f32_16x16x128_f8f6f4 v[152:155], a[24:31], v[96:103], 0// 0000000055F4: D3AD0098 0A02C118
	ds_read_b32 v76, v5 offset:29728                           // 0000000055FC: D86C7420 4C000005
	ds_read_b32 v77, v5 offset:34080                           // 000000005604: D86C8520 4D000005
	ds_read_b32 v78, v5 offset:29736                           // 00000000560C: D86C7428 4E000005
	ds_read_b32 v79, v5 offset:34088                           // 000000005614: D86C8528 4F000005
	ds_write_b64 v4, v[168:169] offset:42752                   // 00000000561C: D89AA700 0000A804
	ds_write_b64 v4, v[170:171] offset:51456                   // 000000005624: D89AC900 0000AA04
	ds_write_b64 v4, v[172:173] offset:44928                   // 00000000562C: D89AAF80 0000AC04
	ds_write_b64 v4, v[174:175] offset:53632                   // 000000005634: D89AD180 0000AE04
	v_mfma_f32_16x16x128_f8f6f4 v[156:159], a[24:31], v[104:111], 0// 00000000563C: D3AD009C 0A02D118
	buffer_load_dwordx4 a[56:59], v39, s[12:15], 0 offen       // 000000005644: E05C1000 80833827
	buffer_load_dwordx4 a[60:63], v39, s[12:15], 0 offen offset:1024// 00000000564C: E05C1400 80833C27
	v_mul_f32_dpp v44, v23, v30 row_newbcast:0 row_mask:0xf bank_mask:0xf// 000000005654: 0A583CFA FF015017
	v_mov_b32_e32 v45, v44                                     // 00000000565C: 7E5A032C
	v_pk_mul_f32 v[128:129], v[44:45], v[128:129]              // 000000005660: D3B14080 1803012C
	v_pk_mul_f32 v[130:131], v[44:45], v[130:131]              // 000000005668: D3B14082 1803052C
	v_pk_mul_f32 v[136:137], v[44:45], v[136:137]              // 000000005670: D3B14088 1803112C
	v_pk_mul_f32 v[138:139], v[44:45], v[138:139]              // 000000005678: D3B1408A 1803152C
	v_mul_f32_dpp v44, v23, v30 row_newbcast:1 row_mask:0xf bank_mask:0xf// 000000005680: 0A583CFA FF015117
	v_mov_b32_e32 v45, v44                                     // 000000005688: 7E5A032C
	v_pk_mul_f32 v[144:145], v[44:45], v[144:145]              // 00000000568C: D3B14090 1803212C
	v_pk_mul_f32 v[146:147], v[44:45], v[146:147]              // 000000005694: D3B14092 1803252C
	v_pk_mul_f32 v[152:153], v[44:45], v[152:153]              // 00000000569C: D3B14098 1803312C
	v_pk_mul_f32 v[154:155], v[44:45], v[154:155]              // 0000000056A4: D3B1409A 1803352C
	v_mul_f32_dpp v44, v23, v31 row_newbcast:0 row_mask:0xf bank_mask:0xf// 0000000056AC: 0A583EFA FF015017
	v_mov_b32_e32 v45, v44                                     // 0000000056B4: 7E5A032C
	v_pk_mul_f32 v[132:133], v[44:45], v[132:133]              // 0000000056B8: D3B14084 1803092C
	v_pk_mul_f32 v[134:135], v[44:45], v[134:135]              // 0000000056C0: D3B14086 18030D2C
	v_pk_mul_f32 v[140:141], v[44:45], v[140:141]              // 0000000056C8: D3B1408C 1803192C
	v_pk_mul_f32 v[142:143], v[44:45], v[142:143]              // 0000000056D0: D3B1408E 18031D2C
	v_mul_f32_dpp v44, v23, v31 row_newbcast:1 row_mask:0xf bank_mask:0xf// 0000000056D8: 0A583EFA FF015117
	v_mov_b32_e32 v45, v44                                     // 0000000056E0: 7E5A032C
	v_pk_mul_f32 v[148:149], v[44:45], v[148:149]              // 0000000056E4: D3B14094 1803292C
	v_pk_mul_f32 v[150:151], v[44:45], v[150:151]              // 0000000056EC: D3B14096 18032D2C
	v_pk_mul_f32 v[156:157], v[44:45], v[156:157]              // 0000000056F4: D3B1409C 1803392C
	v_pk_mul_f32 v[158:159], v[44:45], v[158:159]              // 0000000056FC: D3B1409E 18033D2C
	s_add_u32 s60, 0x200, s80                                  // 000000005704: 803C50FF 00000200
	s_cmp_lt_u32 s60, s81                                      // 00000000570C: BF0A513C
	s_cselect_b32 s56, s56, 0                                  // 000000005710: 85388038
	s_cselect_b32 s78, s78, 0                                  // 000000005714: 854E804E
	s_cselect_b32 s79, s79, 0                                  // 000000005718: 854F804F
	s_add_u32 s12, s56, s12                                    // 00000000571C: 800C0C38
	s_addc_u32 s13, 0, s13                                     // 000000005720: 820D0D80
	s_add_u32 s16, s79, s16                                    // 000000005724: 8010104F
	s_addc_u32 s17, 0, s17                                     // 000000005728: 82111180
	v_mov_b32_e32 v44, v25                                     // 00000000572C: 7E580319
	v_mov_b32_e32 v45, v25                                     // 000000005730: 7E5A0319
	v_pk_mul_f32 v[128:129], v[44:45], v[128:129]              // 000000005734: D3B14080 1803012C
	v_pk_mul_f32 v[130:131], v[44:45], v[130:131]              // 00000000573C: D3B14082 1803052C
	v_pk_mul_f32 v[136:137], v[44:45], v[136:137]              // 000000005744: D3B14088 1803112C
	v_pk_mul_f32 v[138:139], v[44:45], v[138:139]              // 00000000574C: D3B1408A 1803152C
	v_pk_mul_f32 v[144:145], v[44:45], v[144:145]              // 000000005754: D3B14090 1803212C
	v_pk_mul_f32 v[146:147], v[44:45], v[146:147]              // 00000000575C: D3B14092 1803252C
	v_pk_mul_f32 v[152:153], v[44:45], v[152:153]              // 000000005764: D3B14098 1803312C
	v_pk_mul_f32 v[154:155], v[44:45], v[154:155]              // 00000000576C: D3B1409A 1803352C
	v_mov_b32_e32 v44, v26                                     // 000000005774: 7E58031A
	v_mov_b32_e32 v45, v26                                     // 000000005778: 7E5A031A
	v_pk_mul_f32 v[132:133], v[44:45], v[132:133]              // 00000000577C: D3B14084 1803092C
	v_pk_mul_f32 v[134:135], v[44:45], v[134:135]              // 000000005784: D3B14086 18030D2C
	v_pk_mul_f32 v[140:141], v[44:45], v[140:141]              // 00000000578C: D3B1408C 1803192C
	v_pk_mul_f32 v[142:143], v[44:45], v[142:143]              // 000000005794: D3B1408E 18031D2C
	v_pk_mul_f32 v[148:149], v[44:45], v[148:149]              // 00000000579C: D3B14094 1803292C
	v_pk_mul_f32 v[150:151], v[44:45], v[150:151]              // 0000000057A4: D3B14096 18032D2C
	v_pk_mul_f32 v[156:157], v[44:45], v[156:157]              // 0000000057AC: D3B1409C 1803392C
	v_pk_mul_f32 v[158:159], v[44:45], v[158:159]              // 0000000057B4: D3B1409E 18033D2C
	v_cvt_pk_bf16_f32 v128, v128, v129                         // 0000000057BC: D2680080 00030380
	v_cvt_pk_bf16_f32 v129, v130, v131                         // 0000000057C4: D2680081 00030782
	v_cvt_pk_bf16_f32 v130, v132, v133                         // 0000000057CC: D2680082 00030B84
	v_cvt_pk_bf16_f32 v131, v134, v135                         // 0000000057D4: D2680083 00030F86
	v_cvt_pk_bf16_f32 v132, v136, v137                         // 0000000057DC: D2680084 00031388
	v_cvt_pk_bf16_f32 v133, v138, v139                         // 0000000057E4: D2680085 0003178A
	v_cvt_pk_bf16_f32 v134, v140, v141                         // 0000000057EC: D2680086 00031B8C
	v_cvt_pk_bf16_f32 v135, v142, v143                         // 0000000057F4: D2680087 00031F8E
	v_cvt_pk_bf16_f32 v136, v144, v145                         // 0000000057FC: D2680088 00032390
	v_cvt_pk_bf16_f32 v137, v146, v147                         // 000000005804: D2680089 00032792
	v_cvt_pk_bf16_f32 v138, v148, v149                         // 00000000580C: D268008A 00032B94
	v_cvt_pk_bf16_f32 v139, v150, v151                         // 000000005814: D268008B 00032F96
	v_cvt_pk_bf16_f32 v140, v152, v153                         // 00000000581C: D268008C 00033398
	v_cvt_pk_bf16_f32 v141, v154, v155                         // 000000005824: D268008D 0003379A
	v_cvt_pk_bf16_f32 v142, v156, v157                         // 00000000582C: D268008E 00033B9C
	v_cvt_pk_bf16_f32 v143, v158, v159                         // 000000005834: D268008F 00033F9E
	s_cmp_ge_u32 s80, 0x200                                    // 00000000583C: BF09FF50 00000200
	s_cselect_b32 s59, 0x200, s59                              // 000000005844: 853B3BFF 00000200
	s_setvskip s20, 0                                          // 00000000584C: BF108014
	global_atomic_pk_add_bf16 v80, v64, s[8:9]                 // 000000005850: DD488000 00084050
	s_setvskip 0, 0                                            // 000000005858: BF108080
	s_setvskip s20, 0                                          // 00000000585C: BF108014
	global_atomic_pk_add_bf16 v80, v65, s[8:9] offset:256      // 000000005860: DD488100 00084150
	s_setvskip 0, 0                                            // 000000005868: BF108080
	s_setvskip s20, 1                                          // 00000000586C: BF108114
	global_atomic_pk_add_bf16 v82, v66, s[8:9]                 // 000000005870: DD488000 00084252
	s_setvskip 0, 0                                            // 000000005878: BF108080
	s_setvskip s20, 1                                          // 00000000587C: BF108114
	global_atomic_pk_add_bf16 v82, v67, s[8:9] offset:256      // 000000005880: DD488100 00084352
	s_setvskip 0, 0                                            // 000000005888: BF108080
	s_setvskip s20, 2                                          // 00000000588C: BF108214
	global_atomic_pk_add_bf16 v84, v68, s[8:9]                 // 000000005890: DD488000 00084454
	s_setvskip 0, 0                                            // 000000005898: BF108080
	s_setvskip s20, 2                                          // 00000000589C: BF108214
	global_atomic_pk_add_bf16 v84, v69, s[8:9] offset:256      // 0000000058A0: DD488100 00084554
	s_setvskip 0, 0                                            // 0000000058A8: BF108080
	s_setvskip s20, 3                                          // 0000000058AC: BF108314
	global_atomic_pk_add_bf16 v86, v70, s[8:9]                 // 0000000058B0: DD488000 00084656
	s_setvskip 0, 0                                            // 0000000058B8: BF108080
	s_setvskip s20, 3                                          // 0000000058BC: BF108314
	global_atomic_pk_add_bf16 v86, v71, s[8:9] offset:256      // 0000000058C0: DD488100 00084756
	s_setvskip 0, 0                                            // 0000000058C8: BF108080
	s_setvskip s20, 4                                          // 0000000058CC: BF108414
	global_atomic_pk_add_bf16 v88, v72, s[8:9]                 // 0000000058D0: DD488000 00084858
	s_setvskip 0, 0                                            // 0000000058D8: BF108080
	s_setvskip s20, 4                                          // 0000000058DC: BF108414
	global_atomic_pk_add_bf16 v88, v73, s[8:9] offset:256      // 0000000058E0: DD488100 00084958
	s_setvskip 0, 0                                            // 0000000058E8: BF108080
	s_setvskip s20, 5                                          // 0000000058EC: BF108514
	global_atomic_pk_add_bf16 v90, v74, s[8:9]                 // 0000000058F0: DD488000 00084A5A
	s_setvskip 0, 0                                            // 0000000058F8: BF108080
	s_setvskip s20, 5                                          // 0000000058FC: BF108514
	global_atomic_pk_add_bf16 v90, v75, s[8:9] offset:256      // 000000005900: DD488100 00084B5A
	s_setvskip 0, 0                                            // 000000005908: BF108080
	s_setvskip s20, 6                                          // 00000000590C: BF108614
	global_atomic_pk_add_bf16 v92, v76, s[8:9]                 // 000000005910: DD488000 00084C5C
	s_setvskip 0, 0                                            // 000000005918: BF108080
	s_setvskip s20, 6                                          // 00000000591C: BF108614
	global_atomic_pk_add_bf16 v92, v77, s[8:9] offset:256      // 000000005920: DD488100 00084D5C
	s_setvskip 0, 0                                            // 000000005928: BF108080
	s_setvskip s20, 7                                          // 00000000592C: BF108714
	global_atomic_pk_add_bf16 v94, v78, s[8:9]                 // 000000005930: DD488000 00084E5E
	s_setvskip 0, 0                                            // 000000005938: BF108080
	s_setvskip s20, 7                                          // 00000000593C: BF108714
	global_atomic_pk_add_bf16 v94, v79, s[8:9] offset:256      // 000000005940: DD488100 00084F5E
	s_setvskip 0, 0                                            // 000000005948: BF108080
	s_add_u32 s8, s59, s8                                      // 00000000594C: 8008083B
	s_addc_u32 s9, 0, s9                                       // 000000005950: 82090980
	s_addk_i32 s80, 0x100                                      // 000000005954: B7500100
	s_cmp_lt_i32 s80, s81                                      // 000000005958: BF045150
	s_cbranch_scc0 label_0BF1                                  // 00000000595C: BF840119
	s_waitcnt vmcnt(4) lgkmcnt(0)                              // 000000005960: BF8C0074
	s_barrier                                                  // 000000005964: BF8A0000
	v_mfma_f32_16x16x128_f8f6f4 v[160:163], a[32:39], v[96:103], 0// 000000005968: D3AD00A0 0A02C120
	ds_read_b32 v64, v5 offset:38400                           // 000000005970: D86C9600 40000005
	ds_read_b32 v65, v5 offset:42752                           // 000000005978: D86CA700 41000005
	ds_read_b32 v66, v5 offset:38408                           // 000000005980: D86C9608 42000005
	ds_read_b32 v67, v5 offset:42760                           // 000000005988: D86CA708 43000005
	v_mfma_f32_16x16x128_f8f6f4 v[164:167], a[32:39], v[104:111], 0// 000000005990: D3AD00A4 0A02D120
	buffer_load_dwordx4 a[0:3], v36, s[12:15], 0 offen         // 000000005998: E05C1000 80830024
	buffer_load_dwordx4 a[4:7], v36, s[12:15], 0 offen offset:1024// 0000000059A0: E05C1400 80830424
	v_mfma_f32_16x16x128_f8f6f4 v[168:171], a[40:47], v[96:103], 0// 0000000059A8: D3AD00A8 0A02C128
	ds_read_b32 v68, v5 offset:38432                           // 0000000059B0: D86C9620 44000005
	ds_read_b32 v69, v5 offset:42784                           // 0000000059B8: D86CA720 45000005
	ds_read_b32 v70, v5 offset:38440                           // 0000000059C0: D86C9628 46000005
	ds_read_b32 v71, v5 offset:42792                           // 0000000059C8: D86CA728 47000005
	v_mfma_f32_16x16x128_f8f6f4 v[172:175], a[40:47], v[104:111], 0// 0000000059D0: D3AD00AC 0A02D128
	buffer_load_dwordx4 a[8:11], v37, s[12:15], 0 offen        // 0000000059D8: E05C1000 80830825
	buffer_load_dwordx4 a[12:15], v37, s[12:15], 0 offen offset:1024// 0000000059E0: E05C1400 80830C25
	buffer_load_dword v23, v6, s[16:19], 0 offen               // 0000000059E8: E0501000 80041706
	s_waitcnt vmcnt(5)                                         // 0000000059F0: BF8C0F75
	v_mfma_f32_16x16x128_f8f6f4 v[176:179], a[48:55], v[96:103], 0// 0000000059F4: D3AD00B0 0A02C130
	ds_read_b32 v72, v5 offset:47104                           // 0000000059FC: D86CB800 48000005
	ds_read_b32 v73, v5 offset:51456                           // 000000005A04: D86CC900 49000005
	ds_read_b32 v74, v5 offset:47112                           // 000000005A0C: D86CB808 4A000005
	ds_read_b32 v75, v5 offset:51464                           // 000000005A14: D86CC908 4B000005
	ds_write_b64 v4, v[128:129] offset:20992                   // 000000005A1C: D89A5200 00008004
	ds_write_b64 v4, v[130:131] offset:29696                   // 000000005A24: D89A7400 00008204
	ds_write_b64 v4, v[132:133] offset:23168                   // 000000005A2C: D89A5A80 00008404
	ds_write_b64 v4, v[134:135] offset:31872                   // 000000005A34: D89A7C80 00008604
	v_mfma_f32_16x16x128_f8f6f4 v[180:183], a[48:55], v[104:111], 0// 000000005A3C: D3AD00B4 0A02D130
	buffer_load_dwordx4 a[16:19], v38, s[12:15], 0 offen       // 000000005A44: E05C1000 80831026
	buffer_load_dwordx4 a[20:23], v38, s[12:15], 0 offen offset:1024// 000000005A4C: E05C1400 80831426
	v_mfma_f32_16x16x128_f8f6f4 v[184:187], a[56:63], v[96:103], 0// 000000005A54: D3AD00B8 0A02C138
	ds_read_b32 v76, v5 offset:47136                           // 000000005A5C: D86CB820 4C000005
	ds_read_b32 v77, v5 offset:51488                           // 000000005A64: D86CC920 4D000005
	ds_read_b32 v78, v5 offset:47144                           // 000000005A6C: D86CB828 4E000005
	ds_read_b32 v79, v5 offset:51496                           // 000000005A74: D86CC928 4F000005
	ds_write_b64 v4, v[136:137] offset:25344                   // 000000005A7C: D89A6300 00008804
	ds_write_b64 v4, v[138:139] offset:34048                   // 000000005A84: D89A8500 00008A04
	ds_write_b64 v4, v[140:141] offset:27520                   // 000000005A8C: D89A6B80 00008C04
	ds_write_b64 v4, v[142:143] offset:36224                   // 000000005A94: D89A8D80 00008E04
	v_mfma_f32_16x16x128_f8f6f4 v[188:191], a[56:63], v[104:111], 0// 000000005A9C: D3AD00BC 0A02D138
	buffer_load_dwordx4 a[24:27], v39, s[12:15], 0 offen       // 000000005AA4: E05C1000 80831827
	buffer_load_dwordx4 a[28:31], v39, s[12:15], 0 offen offset:1024// 000000005AAC: E05C1400 80831C27
	v_mul_f32_dpp v44, v24, v30 row_newbcast:0 row_mask:0xf bank_mask:0xf// 000000005AB4: 0A583CFA FF015018
	v_mov_b32_e32 v45, v44                                     // 000000005ABC: 7E5A032C
	v_pk_mul_f32 v[160:161], v[44:45], v[160:161]              // 000000005AC0: D3B140A0 1803412C
	v_pk_mul_f32 v[162:163], v[44:45], v[162:163]              // 000000005AC8: D3B140A2 1803452C
	v_pk_mul_f32 v[168:169], v[44:45], v[168:169]              // 000000005AD0: D3B140A8 1803512C
	v_pk_mul_f32 v[170:171], v[44:45], v[170:171]              // 000000005AD8: D3B140AA 1803552C
	v_mul_f32_dpp v44, v24, v30 row_newbcast:1 row_mask:0xf bank_mask:0xf// 000000005AE0: 0A583CFA FF015118
	v_mov_b32_e32 v45, v44                                     // 000000005AE8: 7E5A032C
	v_pk_mul_f32 v[176:177], v[44:45], v[176:177]              // 000000005AEC: D3B140B0 1803612C
	v_pk_mul_f32 v[178:179], v[44:45], v[178:179]              // 000000005AF4: D3B140B2 1803652C
	v_pk_mul_f32 v[184:185], v[44:45], v[184:185]              // 000000005AFC: D3B140B8 1803712C
	v_pk_mul_f32 v[186:187], v[44:45], v[186:187]              // 000000005B04: D3B140BA 1803752C
	v_mul_f32_dpp v44, v24, v31 row_newbcast:0 row_mask:0xf bank_mask:0xf// 000000005B0C: 0A583EFA FF015018
	v_mov_b32_e32 v45, v44                                     // 000000005B14: 7E5A032C
	v_pk_mul_f32 v[164:165], v[44:45], v[164:165]              // 000000005B18: D3B140A4 1803492C
	v_pk_mul_f32 v[166:167], v[44:45], v[166:167]              // 000000005B20: D3B140A6 18034D2C
	v_pk_mul_f32 v[172:173], v[44:45], v[172:173]              // 000000005B28: D3B140AC 1803592C
	v_pk_mul_f32 v[174:175], v[44:45], v[174:175]              // 000000005B30: D3B140AE 18035D2C
	v_mul_f32_dpp v44, v24, v31 row_newbcast:1 row_mask:0xf bank_mask:0xf// 000000005B38: 0A583EFA FF015118
	v_mov_b32_e32 v45, v44                                     // 000000005B40: 7E5A032C
	v_pk_mul_f32 v[180:181], v[44:45], v[180:181]              // 000000005B44: D3B140B4 1803692C
	v_pk_mul_f32 v[182:183], v[44:45], v[182:183]              // 000000005B4C: D3B140B6 18036D2C
	v_pk_mul_f32 v[188:189], v[44:45], v[188:189]              // 000000005B54: D3B140BC 1803792C
	v_pk_mul_f32 v[190:191], v[44:45], v[190:191]              // 000000005B5C: D3B140BE 18037D2C
	s_add_u32 s60, 0x200, s80                                  // 000000005B64: 803C50FF 00000200
	s_cmp_lt_u32 s60, s81                                      // 000000005B6C: BF0A513C
	s_cselect_b32 s56, s56, 0                                  // 000000005B70: 85388038
	s_cselect_b32 s78, s78, 0                                  // 000000005B74: 854E804E
	s_cselect_b32 s79, s79, 0                                  // 000000005B78: 854F804F
	s_add_u32 s12, s56, s12                                    // 000000005B7C: 800C0C38
	s_addc_u32 s13, 0, s13                                     // 000000005B80: 820D0D80
	s_add_u32 s16, s79, s16                                    // 000000005B84: 8010104F
	s_addc_u32 s17, 0, s17                                     // 000000005B88: 82111180
	v_mov_b32_e32 v44, v25                                     // 000000005B8C: 7E580319
	v_mov_b32_e32 v45, v25                                     // 000000005B90: 7E5A0319
	v_pk_mul_f32 v[160:161], v[44:45], v[160:161]              // 000000005B94: D3B140A0 1803412C
	v_pk_mul_f32 v[162:163], v[44:45], v[162:163]              // 000000005B9C: D3B140A2 1803452C
	v_pk_mul_f32 v[168:169], v[44:45], v[168:169]              // 000000005BA4: D3B140A8 1803512C
	v_pk_mul_f32 v[170:171], v[44:45], v[170:171]              // 000000005BAC: D3B140AA 1803552C
	v_pk_mul_f32 v[176:177], v[44:45], v[176:177]              // 000000005BB4: D3B140B0 1803612C
	v_pk_mul_f32 v[178:179], v[44:45], v[178:179]              // 000000005BBC: D3B140B2 1803652C
	v_pk_mul_f32 v[184:185], v[44:45], v[184:185]              // 000000005BC4: D3B140B8 1803712C
	v_pk_mul_f32 v[186:187], v[44:45], v[186:187]              // 000000005BCC: D3B140BA 1803752C
	v_mov_b32_e32 v44, v26                                     // 000000005BD4: 7E58031A
	v_mov_b32_e32 v45, v26                                     // 000000005BD8: 7E5A031A
	v_pk_mul_f32 v[164:165], v[44:45], v[164:165]              // 000000005BDC: D3B140A4 1803492C
	v_pk_mul_f32 v[166:167], v[44:45], v[166:167]              // 000000005BE4: D3B140A6 18034D2C
	v_pk_mul_f32 v[172:173], v[44:45], v[172:173]              // 000000005BEC: D3B140AC 1803592C
	v_pk_mul_f32 v[174:175], v[44:45], v[174:175]              // 000000005BF4: D3B140AE 18035D2C
	v_pk_mul_f32 v[180:181], v[44:45], v[180:181]              // 000000005BFC: D3B140B4 1803692C
	v_pk_mul_f32 v[182:183], v[44:45], v[182:183]              // 000000005C04: D3B140B6 18036D2C
	v_pk_mul_f32 v[188:189], v[44:45], v[188:189]              // 000000005C0C: D3B140BC 1803792C
	v_pk_mul_f32 v[190:191], v[44:45], v[190:191]              // 000000005C14: D3B140BE 18037D2C
	v_cvt_pk_bf16_f32 v160, v160, v161                         // 000000005C1C: D26800A0 000343A0
	v_cvt_pk_bf16_f32 v161, v162, v163                         // 000000005C24: D26800A1 000347A2
	v_cvt_pk_bf16_f32 v162, v164, v165                         // 000000005C2C: D26800A2 00034BA4
	v_cvt_pk_bf16_f32 v163, v166, v167                         // 000000005C34: D26800A3 00034FA6
	v_cvt_pk_bf16_f32 v164, v168, v169                         // 000000005C3C: D26800A4 000353A8
	v_cvt_pk_bf16_f32 v165, v170, v171                         // 000000005C44: D26800A5 000357AA
	v_cvt_pk_bf16_f32 v166, v172, v173                         // 000000005C4C: D26800A6 00035BAC
	v_cvt_pk_bf16_f32 v167, v174, v175                         // 000000005C54: D26800A7 00035FAE
	v_cvt_pk_bf16_f32 v168, v176, v177                         // 000000005C5C: D26800A8 000363B0
	v_cvt_pk_bf16_f32 v169, v178, v179                         // 000000005C64: D26800A9 000367B2
	v_cvt_pk_bf16_f32 v170, v180, v181                         // 000000005C6C: D26800AA 00036BB4
	v_cvt_pk_bf16_f32 v171, v182, v183                         // 000000005C74: D26800AB 00036FB6
	v_cvt_pk_bf16_f32 v172, v184, v185                         // 000000005C7C: D26800AC 000373B8
	v_cvt_pk_bf16_f32 v173, v186, v187                         // 000000005C84: D26800AD 000377BA
	v_cvt_pk_bf16_f32 v174, v188, v189                         // 000000005C8C: D26800AE 00037BBC
	v_cvt_pk_bf16_f32 v175, v190, v191                         // 000000005C94: D26800AF 00037FBE
	s_cmp_ge_u32 s80, 0x200                                    // 000000005C9C: BF09FF50 00000200
	s_cselect_b32 s59, 0x200, s59                              // 000000005CA4: 853B3BFF 00000200
	s_setvskip s20, 0                                          // 000000005CAC: BF108014
	global_atomic_pk_add_bf16 v80, v64, s[8:9]                 // 000000005CB0: DD488000 00084050
	s_setvskip 0, 0                                            // 000000005CB8: BF108080
	s_setvskip s20, 0                                          // 000000005CBC: BF108014
	global_atomic_pk_add_bf16 v80, v65, s[8:9] offset:256      // 000000005CC0: DD488100 00084150
	s_setvskip 0, 0                                            // 000000005CC8: BF108080
	s_setvskip s20, 1                                          // 000000005CCC: BF108114
	global_atomic_pk_add_bf16 v82, v66, s[8:9]                 // 000000005CD0: DD488000 00084252
	s_setvskip 0, 0                                            // 000000005CD8: BF108080
	s_setvskip s20, 1                                          // 000000005CDC: BF108114
	global_atomic_pk_add_bf16 v82, v67, s[8:9] offset:256      // 000000005CE0: DD488100 00084352
	s_setvskip 0, 0                                            // 000000005CE8: BF108080
	s_setvskip s20, 2                                          // 000000005CEC: BF108214
	global_atomic_pk_add_bf16 v84, v68, s[8:9]                 // 000000005CF0: DD488000 00084454
	s_setvskip 0, 0                                            // 000000005CF8: BF108080
	s_setvskip s20, 2                                          // 000000005CFC: BF108214
	global_atomic_pk_add_bf16 v84, v69, s[8:9] offset:256      // 000000005D00: DD488100 00084554
	s_setvskip 0, 0                                            // 000000005D08: BF108080
	s_setvskip s20, 3                                          // 000000005D0C: BF108314
	global_atomic_pk_add_bf16 v86, v70, s[8:9]                 // 000000005D10: DD488000 00084656
	s_setvskip 0, 0                                            // 000000005D18: BF108080
	s_setvskip s20, 3                                          // 000000005D1C: BF108314
	global_atomic_pk_add_bf16 v86, v71, s[8:9] offset:256      // 000000005D20: DD488100 00084756
	s_setvskip 0, 0                                            // 000000005D28: BF108080
	s_setvskip s20, 4                                          // 000000005D2C: BF108414
	global_atomic_pk_add_bf16 v88, v72, s[8:9]                 // 000000005D30: DD488000 00084858
	s_setvskip 0, 0                                            // 000000005D38: BF108080
	s_setvskip s20, 4                                          // 000000005D3C: BF108414
	global_atomic_pk_add_bf16 v88, v73, s[8:9] offset:256      // 000000005D40: DD488100 00084958
	s_setvskip 0, 0                                            // 000000005D48: BF108080
	s_setvskip s20, 5                                          // 000000005D4C: BF108514
	global_atomic_pk_add_bf16 v90, v74, s[8:9]                 // 000000005D50: DD488000 00084A5A
	s_setvskip 0, 0                                            // 000000005D58: BF108080
	s_setvskip s20, 5                                          // 000000005D5C: BF108514
	global_atomic_pk_add_bf16 v90, v75, s[8:9] offset:256      // 000000005D60: DD488100 00084B5A
	s_setvskip 0, 0                                            // 000000005D68: BF108080
	s_setvskip s20, 6                                          // 000000005D6C: BF108614
	global_atomic_pk_add_bf16 v92, v76, s[8:9]                 // 000000005D70: DD488000 00084C5C
	s_setvskip 0, 0                                            // 000000005D78: BF108080
	s_setvskip s20, 6                                          // 000000005D7C: BF108614
	global_atomic_pk_add_bf16 v92, v77, s[8:9] offset:256      // 000000005D80: DD488100 00084D5C
	s_setvskip 0, 0                                            // 000000005D88: BF108080
	s_setvskip s20, 7                                          // 000000005D8C: BF108714
	global_atomic_pk_add_bf16 v94, v78, s[8:9]                 // 000000005D90: DD488000 00084E5E
	s_setvskip 0, 0                                            // 000000005D98: BF108080
	s_setvskip s20, 7                                          // 000000005D9C: BF108714
	global_atomic_pk_add_bf16 v94, v79, s[8:9] offset:256      // 000000005DA0: DD488100 00084F5E
	s_setvskip 0, 0                                            // 000000005DA8: BF108080
	s_add_u32 s8, s59, s8                                      // 000000005DAC: 8008083B
	s_addc_u32 s9, 0, s9                                       // 000000005DB0: 82090980
	s_addk_i32 s80, 0x100                                      // 000000005DB4: B7500100
	s_cmp_lt_i32 s80, s81                                      // 000000005DB8: BF045150
	s_cbranch_scc0 label_0BF1                                  // 000000005DBC: BF840001
	s_branch label_09C0                                        // 000000005DC0: BF82FDCF

0000000000005dc4 <label_0BF1>:
	s_nop 0                                                    // 000000005DC4: BF800000
	s_nop 0                                                    // 000000005DC8: BF800000
	s_branch label_140C                                        // 000000005DCC: BF820818

0000000000005dd0 <label_0BF4>:
	s_waitcnt vmcnt(4) lgkmcnt(0)                              // 000000005DD0: BF8C0074
	s_barrier                                                  // 000000005DD4: BF8A0000
	v_mfma_f32_16x16x128_f8f6f4 v[112:115], a[0:7], v[128:135], 0// 000000005DD8: D3AD0070 0A030100
	buffer_load_dwordx4 v[160:163], v32, s[20:23], 0 offen     // 000000005DE0: E05C1000 8005A020
	buffer_load_dwordx4 v[164:167], v32, s[20:23], 0 offen offset:16// 000000005DE8: E05C1010 8005A420
	buffer_load_dwordx4 v[168:171], v33, s[20:23], 0 offen     // 000000005DF0: E05C1000 8005A821
	buffer_load_dwordx4 v[172:175], v33, s[20:23], 0 offen offset:16// 000000005DF8: E05C1010 8005AC21
	buffer_load_dwordx4 a[32:35], v34, s[92:95], 0 offen       // 000000005E00: E05C1000 80972022
	buffer_load_dwordx4 a[36:39], v34, s[92:95], 0 offen offset:1024// 000000005E08: E05C1400 80972422
	v_mfma_f32_16x16x128_f8f6f4 v[116:119], a[0:7], v[144:151], 0// 000000005E10: D3AD0074 0A032100
	v_mfma_f32_16x16x128_f8f6f4 v[120:123], a[8:15], v[128:135], 0// 000000005E18: D3AD0078 0A030108
	buffer_load_dwordx4 a[40:43], v35, s[92:95], 0 offen       // 000000005E20: E05C1000 80972823
	buffer_load_dwordx4 a[44:47], v35, s[92:95], 0 offen offset:1024// 000000005E28: E05C1400 80972C23
	buffer_load_dword v24, v13, s[32:35], 0 offen              // 000000005E30: E0501000 8008180D
	v_mfma_f32_16x16x128_f8f6f4 v[124:127], a[8:15], v[144:151], 0// 000000005E38: D3AD007C 0A032108
	v_mul_f32_dpp v44, v23, v15 row_newbcast:0 row_mask:0xf bank_mask:0xf// 000000005E40: 0A581EFA FF015017
	v_mov_b32_e32 v45, v44                                     // 000000005E48: 7E5A032C
	v_pk_fma_f32 v[96:97], v[112:113], v[44:45], v[96:97]      // 000000005E4C: D3B04060 1D825970
	v_pk_fma_f32 v[98:99], v[114:115], v[44:45], v[98:99]      // 000000005E54: D3B04062 1D8A5972
	v_pk_fma_f32 v[104:105], v[120:121], v[44:45], v[104:105]  // 000000005E5C: D3B04068 1DA25978
	v_pk_fma_f32 v[106:107], v[122:123], v[44:45], v[106:107]  // 000000005E64: D3B0406A 1DAA597A
	v_mul_f32_dpp v44, v23, v16 row_newbcast:0 row_mask:0xf bank_mask:0xf// 000000005E6C: 0A5820FA FF015017
	v_mov_b32_e32 v45, v44                                     // 000000005E74: 7E5A032C
	v_pk_fma_f32 v[100:101], v[116:117], v[44:45], v[100:101]  // 000000005E78: D3B04064 1D925974
	v_pk_fma_f32 v[102:103], v[118:119], v[44:45], v[102:103]  // 000000005E80: D3B04066 1D9A5976
	v_pk_fma_f32 v[108:109], v[124:125], v[44:45], v[108:109]  // 000000005E88: D3B0406C 1DB2597C
	v_pk_fma_f32 v[110:111], v[126:127], v[44:45], v[110:111]  // 000000005E90: D3B0406E 1DBA597E
	s_waitcnt vmcnt(9)                                         // 000000005E98: BF8C0F79
	v_mfma_f32_16x16x128_f8f6f4 v[112:115], a[16:23], v[136:143], 0// 000000005E9C: D3AD0070 0A031110
	buffer_load_dwordx4 a[48:51], v34, s[92:95], 0 offen offset:2048// 000000005EA4: E05C1800 80973022
	buffer_load_dwordx4 a[52:55], v34, s[92:95], 0 offen offset:3072// 000000005EAC: E05C1C00 80973422
	v_mfma_f32_16x16x128_f8f6f4 v[116:119], a[16:23], v[152:159], 0// 000000005EB4: D3AD0074 0A033110
	v_mfma_f32_16x16x128_f8f6f4 v[120:123], a[24:31], v[136:143], 0// 000000005EBC: D3AD0078 0A031118
	buffer_load_dwordx4 a[56:59], v35, s[92:95], 0 offen offset:2048// 000000005EC4: E05C1800 80973823
	buffer_load_dwordx4 a[60:63], v35, s[92:95], 0 offen offset:3072// 000000005ECC: E05C1C00 80973C23
	v_mfma_f32_16x16x128_f8f6f4 v[124:127], a[24:31], v[152:159], 0// 000000005ED4: D3AD007C 0A033118
	v_mul_f32_dpp v44, v23, v17 row_newbcast:2 row_mask:0xf bank_mask:0xf// 000000005EDC: 0A5822FA FF015217
	v_mov_b32_e32 v45, v44                                     // 000000005EE4: 7E5A032C
	v_pk_fma_f32 v[96:97], v[112:113], v[44:45], v[96:97]      // 000000005EE8: D3B04060 1D825970
	v_pk_fma_f32 v[98:99], v[114:115], v[44:45], v[98:99]      // 000000005EF0: D3B04062 1D8A5972
	v_pk_fma_f32 v[104:105], v[120:121], v[44:45], v[104:105]  // 000000005EF8: D3B04068 1DA25978
	v_pk_fma_f32 v[106:107], v[122:123], v[44:45], v[106:107]  // 000000005F00: D3B0406A 1DAA597A
	v_mul_f32_dpp v44, v23, v18 row_newbcast:2 row_mask:0xf bank_mask:0xf// 000000005F08: 0A5824FA FF015217
	v_mov_b32_e32 v45, v44                                     // 000000005F10: 7E5A032C
	v_pk_fma_f32 v[100:101], v[116:117], v[44:45], v[100:101]  // 000000005F14: D3B04064 1D925974
	v_pk_fma_f32 v[102:103], v[118:119], v[44:45], v[102:103]  // 000000005F1C: D3B04066 1D9A5976
	v_pk_fma_f32 v[108:109], v[124:125], v[44:45], v[108:109]  // 000000005F24: D3B0406C 1DB2597C
	v_pk_fma_f32 v[110:111], v[126:127], v[44:45], v[110:111]  // 000000005F2C: D3B0406E 1DBA597E
	s_waitcnt vmcnt(11)                                        // 000000005F34: BF8C0F7B
	v_mov_b32_e32 v28, 0x358637bd                              // 000000005F38: 7E3802FF 358637BD
	v_lshlrev_b32_e32 v44, 16, v160                            // 000000005F40: 24594090
	v_and_b32_e32 v45, 0xffff0000, v160                        // 000000005F44: 265B40FF FFFF0000
	v_max3_f32 v28, |v45|, |v44|, v28                          // 000000005F4C: D1D3031C 0472592D
	v_lshlrev_b32_e32 v44, 16, v161                            // 000000005F54: 24594290
	v_and_b32_e32 v45, 0xffff0000, v161                        // 000000005F58: 265B42FF FFFF0000
	v_max3_f32 v28, |v45|, |v44|, v28                          // 000000005F60: D1D3031C 0472592D
	v_lshlrev_b32_e32 v44, 16, v162                            // 000000005F68: 24594490
	v_and_b32_e32 v45, 0xffff0000, v162                        // 000000005F6C: 265B44FF FFFF0000
	v_max3_f32 v28, |v45|, |v44|, v28                          // 000000005F74: D1D3031C 0472592D
	v_lshlrev_b32_e32 v44, 16, v163                            // 000000005F7C: 24594690
	v_and_b32_e32 v45, 0xffff0000, v163                        // 000000005F80: 265B46FF FFFF0000
	v_max3_f32 v28, |v45|, |v44|, v28                          // 000000005F88: D1D3031C 0472592D
	v_lshlrev_b32_e32 v44, 16, v164                            // 000000005F90: 24594890
	v_and_b32_e32 v45, 0xffff0000, v164                        // 000000005F94: 265B48FF FFFF0000
	v_max3_f32 v28, |v45|, |v44|, v28                          // 000000005F9C: D1D3031C 0472592D
	v_lshlrev_b32_e32 v44, 16, v165                            // 000000005FA4: 24594A90
	v_and_b32_e32 v45, 0xffff0000, v165                        // 000000005FA8: 265B4AFF FFFF0000
	v_max3_f32 v28, |v45|, |v44|, v28                          // 000000005FB0: D1D3031C 0472592D
	v_lshlrev_b32_e32 v44, 16, v166                            // 000000005FB8: 24594C90
	v_and_b32_e32 v45, 0xffff0000, v166                        // 000000005FBC: 265B4CFF FFFF0000
	v_max3_f32 v28, |v45|, |v44|, v28                          // 000000005FC4: D1D3031C 0472592D
	v_lshlrev_b32_e32 v44, 16, v167                            // 000000005FCC: 24594E90
	v_and_b32_e32 v45, 0xffff0000, v167                        // 000000005FD0: 265B4EFF FFFF0000
	v_max3_f32 v28, |v45|, |v44|, v28                          // 000000005FD8: D1D3031C 0472592D
	s_barrier                                                  // 000000005FE0: BF8A0000
	v_max_f32_dpp v29, v28, v28 quad_perm:[1,2,3,0] row_mask:0xf bank_mask:0xf// 000000005FE4: 163A38FA FF00391C
	s_nop 1                                                    // 000000005FEC: BF800001
	v_max_f32_dpp v44, v29, v29 quad_perm:[2,3,0,1] row_mask:0xf bank_mask:0xf// 000000005FF0: 16583AFA FF004E1D
	s_nop 1                                                    // 000000005FF8: BF800001
	v_max_f32_dpp v28, v44, v44 row_half_mirror row_mask:0xf bank_mask:0xf// 000000005FFC: 163858FA FF01412C
	s_mov_b32 s60, 0x43e00000                                  // 000000006004: BEBC00FF 43E00000
	s_mov_b32 s61, 0x3b124925                                  // 00000000600C: BEBD00FF 3B124925
	s_mov_b32 s62, 0xc3e00000                                  // 000000006014: BEBE00FF C3E00000
	v_rcp_f32_e32 v44, v28                                     // 00000000601C: 7E58451C
	v_mul_f32_e32 v30, s61, v28                                // 000000006020: 0A3C383D
	v_fma_f32 v45, v30, s62, v28                               // 000000006024: D1CB002D 04707D1E
	v_fma_f32 v30, v45, s61, v30                               // 00000000602C: D1CB001E 04787B2D
	v_mul_f32_e32 v29, s60, v44                                // 000000006034: 0A3A583C
	v_xor_b32_e32 v45, 0x80000000, v28                         // 000000006038: 2A5A38FF 80000000
	v_fma_f32 v45, v45, v29, s60                               // 000000006040: D1CB002D 00F23B2D
	v_fma_f32 v28, v45, v44, v29                               // 000000006048: D1CB001C 0476592D
	v_mov_b32_e32 v29, v28                                     // 000000006050: 7E3A031C
	v_lshlrev_b32_e32 v44, 16, v160                            // 000000006054: 24594090
	v_and_b32_e32 v45, 0xffff0000, v160                        // 000000006058: 265B40FF FFFF0000
	v_pk_mul_f32 v[44:45], v[44:45], v[28:29]                  // 000000006060: D3B1402C 1802392C
	v_cvt_pk_fp8_f32 v160, v44, v45                            // 000000006068: D2A200A0 00025B2C
	v_lshlrev_b32_e32 v44, 16, v161                            // 000000006070: 24594290
	v_and_b32_e32 v45, 0xffff0000, v161                        // 000000006074: 265B42FF FFFF0000
	v_pk_mul_f32 v[44:45], v[44:45], v[28:29]                  // 00000000607C: D3B1402C 1802392C
	v_cvt_pk_fp8_f32 v160, v44, v45 op_sel:[0,0,1]             // 000000006084: D2A240A0 00025B2C
	v_lshlrev_b32_e32 v44, 16, v162                            // 00000000608C: 24594490
	v_and_b32_e32 v45, 0xffff0000, v162                        // 000000006090: 265B44FF FFFF0000
	v_pk_mul_f32 v[44:45], v[44:45], v[28:29]                  // 000000006098: D3B1402C 1802392C
	v_cvt_pk_fp8_f32 v161, v44, v45                            // 0000000060A0: D2A200A1 00025B2C
	v_lshlrev_b32_e32 v44, 16, v163                            // 0000000060A8: 24594690
	v_and_b32_e32 v45, 0xffff0000, v163                        // 0000000060AC: 265B46FF FFFF0000
	v_pk_mul_f32 v[44:45], v[44:45], v[28:29]                  // 0000000060B4: D3B1402C 1802392C
	v_cvt_pk_fp8_f32 v161, v44, v45 op_sel:[0,0,1]             // 0000000060BC: D2A240A1 00025B2C
	v_lshlrev_b32_e32 v44, 16, v164                            // 0000000060C4: 24594890
	v_and_b32_e32 v45, 0xffff0000, v164                        // 0000000060C8: 265B48FF FFFF0000
	v_pk_mul_f32 v[44:45], v[44:45], v[28:29]                  // 0000000060D0: D3B1402C 1802392C
	v_cvt_pk_fp8_f32 v162, v44, v45                            // 0000000060D8: D2A200A2 00025B2C
	v_lshlrev_b32_e32 v44, 16, v165                            // 0000000060E0: 24594A90
	v_and_b32_e32 v45, 0xffff0000, v165                        // 0000000060E4: 265B4AFF FFFF0000
	v_pk_mul_f32 v[44:45], v[44:45], v[28:29]                  // 0000000060EC: D3B1402C 1802392C
	v_cvt_pk_fp8_f32 v162, v44, v45 op_sel:[0,0,1]             // 0000000060F4: D2A240A2 00025B2C
	v_lshlrev_b32_e32 v44, 16, v166                            // 0000000060FC: 24594C90
	v_and_b32_e32 v45, 0xffff0000, v166                        // 000000006100: 265B4CFF FFFF0000
	v_pk_mul_f32 v[44:45], v[44:45], v[28:29]                  // 000000006108: D3B1402C 1802392C
	v_cvt_pk_fp8_f32 v163, v44, v45                            // 000000006110: D2A200A3 00025B2C
	v_lshlrev_b32_e32 v44, 16, v167                            // 000000006118: 24594E90
	v_and_b32_e32 v45, 0xffff0000, v167                        // 00000000611C: 265B4EFF FFFF0000
	v_pk_mul_f32 v[44:45], v[44:45], v[28:29]                  // 000000006124: D3B1402C 1802392C
	v_cvt_pk_fp8_f32 v163, v44, v45 op_sel:[0,0,1]             // 00000000612C: D2A240A3 00025B2C
	v_lshlrev_b32_e32 v44, 4, v0                               // 000000006134: 24580084
	v_add_u32_e64 v44, v44, s51                                // 000000006138: D134002C 0000672C
	ds_write_b128 v44, v[160:163]                              // 000000006140: D9BE0000 0000A02C
	v_add_u32_e32 v44, 0, v31                                  // 000000006148: 68583E80
	s_mov_b64 s[60:61], exec                                   // 00000000614C: BEBC017E
	s_mov_b32 s62, 0xf0f0f0f                                   // 000000006150: BEBE00FF 0F0F0F0F
	s_mov_b32 s63, 0xf0f0f0f                                   // 000000006158: BEBF00FF 0F0F0F0F
	s_mov_b64 exec, s[62:63]                                   // 000000006160: BEFE013E
	ds_write_b32 v44, v30 offset:17920                         // 000000006164: D81A4600 00001E2C
	s_mov_b64 exec, s[60:61]                                   // 00000000616C: BEFE013C
	s_add_u32 s60, 0x100, s80                                  // 000000006170: 803C50FF 00000100
	s_cmp_lt_u32 s60, s81                                      // 000000006178: BF0A513C
	s_cselect_b32 s4, s4, 0                                    // 00000000617C: 85048004
	s_add_u32 s32, s4, s32                                     // 000000006180: 80202004
	s_addc_u32 s33, 0, s33                                     // 000000006184: 82212180
	s_waitcnt vmcnt(4)                                         // 000000006188: BF8C0F74
	s_barrier                                                  // 00000000618C: BF8A0000
	v_mfma_f32_16x16x128_f8f6f4 v[112:115], a[32:39], v[128:135], 0// 000000006190: D3AD0070 0A030120
	buffer_load_dwordx4 a[0:3], v34, s[24:27], 0 offen         // 000000006198: E05C1000 80860022
	buffer_load_dwordx4 a[4:7], v34, s[24:27], 0 offen offset:1024// 0000000061A0: E05C1400 80860422
	buffer_load_dword v23, v11, s[32:35], 0 offen              // 0000000061A8: E0501000 8008170B
	v_mfma_f32_16x16x128_f8f6f4 v[116:119], a[32:39], v[144:151], 0// 0000000061B0: D3AD0074 0A032120
	v_mfma_f32_16x16x128_f8f6f4 v[120:123], a[40:47], v[128:135], 0// 0000000061B8: D3AD0078 0A030128
	buffer_load_dwordx4 a[8:11], v35, s[24:27], 0 offen        // 0000000061C0: E05C1000 80860823
	buffer_load_dwordx4 a[12:15], v35, s[24:27], 0 offen offset:1024// 0000000061C8: E05C1400 80860C23
	v_mfma_f32_16x16x128_f8f6f4 v[124:127], a[40:47], v[144:151], 0// 0000000061D0: D3AD007C 0A032128
	s_waitcnt vmcnt(14)                                        // 0000000061D8: BF8C0F7E
	v_mov_b32_e32 v28, 0x358637bd                              // 0000000061DC: 7E3802FF 358637BD
	v_lshlrev_b32_e32 v44, 16, v168                            // 0000000061E4: 24595090
	v_and_b32_e32 v45, 0xffff0000, v168                        // 0000000061E8: 265B50FF FFFF0000
	v_max3_f32 v28, |v45|, |v44|, v28                          // 0000000061F0: D1D3031C 0472592D
	v_lshlrev_b32_e32 v44, 16, v169                            // 0000000061F8: 24595290
	v_and_b32_e32 v45, 0xffff0000, v169                        // 0000000061FC: 265B52FF FFFF0000
	v_max3_f32 v28, |v45|, |v44|, v28                          // 000000006204: D1D3031C 0472592D
	v_lshlrev_b32_e32 v44, 16, v170                            // 00000000620C: 24595490
	v_and_b32_e32 v45, 0xffff0000, v170                        // 000000006210: 265B54FF FFFF0000
	v_max3_f32 v28, |v45|, |v44|, v28                          // 000000006218: D1D3031C 0472592D
	v_lshlrev_b32_e32 v44, 16, v171                            // 000000006220: 24595690
	v_and_b32_e32 v45, 0xffff0000, v171                        // 000000006224: 265B56FF FFFF0000
	v_max3_f32 v28, |v45|, |v44|, v28                          // 00000000622C: D1D3031C 0472592D
	v_lshlrev_b32_e32 v44, 16, v172                            // 000000006234: 24595890
	v_and_b32_e32 v45, 0xffff0000, v172                        // 000000006238: 265B58FF FFFF0000
	v_max3_f32 v28, |v45|, |v44|, v28                          // 000000006240: D1D3031C 0472592D
	v_lshlrev_b32_e32 v44, 16, v173                            // 000000006248: 24595A90
	v_and_b32_e32 v45, 0xffff0000, v173                        // 00000000624C: 265B5AFF FFFF0000
	v_max3_f32 v28, |v45|, |v44|, v28                          // 000000006254: D1D3031C 0472592D
	v_lshlrev_b32_e32 v44, 16, v174                            // 00000000625C: 24595C90
	v_and_b32_e32 v45, 0xffff0000, v174                        // 000000006260: 265B5CFF FFFF0000
	v_max3_f32 v28, |v45|, |v44|, v28                          // 000000006268: D1D3031C 0472592D
	v_lshlrev_b32_e32 v44, 16, v175                            // 000000006270: 24595E90
	v_and_b32_e32 v45, 0xffff0000, v175                        // 000000006274: 265B5EFF FFFF0000
	v_max3_f32 v28, |v45|, |v44|, v28                          // 00000000627C: D1D3031C 0472592D
	s_barrier                                                  // 000000006284: BF8A0000
	v_max_f32_dpp v29, v28, v28 quad_perm:[1,2,3,0] row_mask:0xf bank_mask:0xf// 000000006288: 163A38FA FF00391C
	s_nop 1                                                    // 000000006290: BF800001
	v_max_f32_dpp v44, v29, v29 quad_perm:[2,3,0,1] row_mask:0xf bank_mask:0xf// 000000006294: 16583AFA FF004E1D
	s_nop 1                                                    // 00000000629C: BF800001
	v_max_f32_dpp v28, v44, v44 row_half_mirror row_mask:0xf bank_mask:0xf// 0000000062A0: 163858FA FF01412C
	s_mov_b32 s60, 0x43e00000                                  // 0000000062A8: BEBC00FF 43E00000
	s_mov_b32 s61, 0x3b124925                                  // 0000000062B0: BEBD00FF 3B124925
	s_mov_b32 s62, 0xc3e00000                                  // 0000000062B8: BEBE00FF C3E00000
	v_rcp_f32_e32 v44, v28                                     // 0000000062C0: 7E58451C
	v_mul_f32_e32 v30, s61, v28                                // 0000000062C4: 0A3C383D
	v_fma_f32 v45, v30, s62, v28                               // 0000000062C8: D1CB002D 04707D1E
	v_fma_f32 v30, v45, s61, v30                               // 0000000062D0: D1CB001E 04787B2D
	v_mul_f32_e32 v29, s60, v44                                // 0000000062D8: 0A3A583C
	v_xor_b32_e32 v45, 0x80000000, v28                         // 0000000062DC: 2A5A38FF 80000000
	v_fma_f32 v45, v45, v29, s60                               // 0000000062E4: D1CB002D 00F23B2D
	v_fma_f32 v28, v45, v44, v29                               // 0000000062EC: D1CB001C 0476592D
	v_mov_b32_e32 v29, v28                                     // 0000000062F4: 7E3A031C
	v_lshlrev_b32_e32 v44, 16, v168                            // 0000000062F8: 24595090
	v_and_b32_e32 v45, 0xffff0000, v168                        // 0000000062FC: 265B50FF FFFF0000
	v_pk_mul_f32 v[44:45], v[44:45], v[28:29]                  // 000000006304: D3B1402C 1802392C
	v_cvt_pk_fp8_f32 v168, v44, v45                            // 00000000630C: D2A200A8 00025B2C
	v_lshlrev_b32_e32 v44, 16, v169                            // 000000006314: 24595290
	v_and_b32_e32 v45, 0xffff0000, v169                        // 000000006318: 265B52FF FFFF0000
	v_pk_mul_f32 v[44:45], v[44:45], v[28:29]                  // 000000006320: D3B1402C 1802392C
	v_cvt_pk_fp8_f32 v168, v44, v45 op_sel:[0,0,1]             // 000000006328: D2A240A8 00025B2C
	v_lshlrev_b32_e32 v44, 16, v170                            // 000000006330: 24595490
	v_and_b32_e32 v45, 0xffff0000, v170                        // 000000006334: 265B54FF FFFF0000
	v_pk_mul_f32 v[44:45], v[44:45], v[28:29]                  // 00000000633C: D3B1402C 1802392C
	v_cvt_pk_fp8_f32 v169, v44, v45                            // 000000006344: D2A200A9 00025B2C
	v_lshlrev_b32_e32 v44, 16, v171                            // 00000000634C: 24595690
	v_and_b32_e32 v45, 0xffff0000, v171                        // 000000006350: 265B56FF FFFF0000
	v_pk_mul_f32 v[44:45], v[44:45], v[28:29]                  // 000000006358: D3B1402C 1802392C
	v_cvt_pk_fp8_f32 v169, v44, v45 op_sel:[0,0,1]             // 000000006360: D2A240A9 00025B2C
	v_lshlrev_b32_e32 v44, 16, v172                            // 000000006368: 24595890
	v_and_b32_e32 v45, 0xffff0000, v172                        // 00000000636C: 265B58FF FFFF0000
	v_pk_mul_f32 v[44:45], v[44:45], v[28:29]                  // 000000006374: D3B1402C 1802392C
	v_cvt_pk_fp8_f32 v170, v44, v45                            // 00000000637C: D2A200AA 00025B2C
	v_lshlrev_b32_e32 v44, 16, v173                            // 000000006384: 24595A90
	v_and_b32_e32 v45, 0xffff0000, v173                        // 000000006388: 265B5AFF FFFF0000
	v_pk_mul_f32 v[44:45], v[44:45], v[28:29]                  // 000000006390: D3B1402C 1802392C
	v_cvt_pk_fp8_f32 v170, v44, v45 op_sel:[0,0,1]             // 000000006398: D2A240AA 00025B2C
	v_lshlrev_b32_e32 v44, 16, v174                            // 0000000063A0: 24595C90
	v_and_b32_e32 v45, 0xffff0000, v174                        // 0000000063A4: 265B5CFF FFFF0000
	v_pk_mul_f32 v[44:45], v[44:45], v[28:29]                  // 0000000063AC: D3B1402C 1802392C
	v_cvt_pk_fp8_f32 v171, v44, v45                            // 0000000063B4: D2A200AB 00025B2C
	v_lshlrev_b32_e32 v44, 16, v175                            // 0000000063BC: 24595E90
	v_and_b32_e32 v45, 0xffff0000, v175                        // 0000000063C0: 265B5EFF FFFF0000
	v_pk_mul_f32 v[44:45], v[44:45], v[28:29]                  // 0000000063C8: D3B1402C 1802392C
	v_cvt_pk_fp8_f32 v171, v44, v45 op_sel:[0,0,1]             // 0000000063D0: D2A240AB 00025B2C
	v_lshlrev_b32_e32 v44, 4, v0                               // 0000000063D8: 24580084
	v_add_u32_e64 v44, v44, s51                                // 0000000063DC: D134002C 0000672C
	ds_write_b128 v44, v[168:171] offset:4224                  // 0000000063E4: D9BE1080 0000A82C
	v_add_u32_e32 v44, 0x200, v31                              // 0000000063EC: 68583EFF 00000200
	s_mov_b64 s[60:61], exec                                   // 0000000063F4: BEBC017E
	s_mov_b32 s62, 0xf0f0f0f                                   // 0000000063F8: BEBE00FF 0F0F0F0F
	s_mov_b32 s63, 0xf0f0f0f                                   // 000000006400: BEBF00FF 0F0F0F0F
	s_mov_b64 exec, s[62:63]                                   // 000000006408: BEFE013E
	ds_write_b32 v44, v30 offset:17920                         // 00000000640C: D81A4600 00001E2C
	s_mov_b64 exec, s[60:61]                                   // 000000006414: BEFE013C
	v_mul_f32_dpp v44, v24, v15 row_newbcast:0 row_mask:0xf bank_mask:0xf// 000000006418: 0A581EFA FF015018
	v_mov_b32_e32 v45, v44                                     // 000000006420: 7E5A032C
	v_pk_fma_f32 v[64:65], v[112:113], v[44:45], v[64:65]      // 000000006424: D3B04040 1D025970
	v_pk_fma_f32 v[66:67], v[114:115], v[44:45], v[66:67]      // 00000000642C: D3B04042 1D0A5972
	v_pk_fma_f32 v[72:73], v[120:121], v[44:45], v[72:73]      // 000000006434: D3B04048 1D225978
	v_pk_fma_f32 v[74:75], v[122:123], v[44:45], v[74:75]      // 00000000643C: D3B0404A 1D2A597A
	v_mul_f32_dpp v44, v24, v16 row_newbcast:0 row_mask:0xf bank_mask:0xf// 000000006444: 0A5820FA FF015018
	v_mov_b32_e32 v45, v44                                     // 00000000644C: 7E5A032C
	v_pk_fma_f32 v[68:69], v[116:117], v[44:45], v[68:69]      // 000000006450: D3B04044 1D125974
	v_pk_fma_f32 v[70:71], v[118:119], v[44:45], v[70:71]      // 000000006458: D3B04046 1D1A5976
	v_pk_fma_f32 v[76:77], v[124:125], v[44:45], v[76:77]      // 000000006460: D3B0404C 1D32597C
	v_pk_fma_f32 v[78:79], v[126:127], v[44:45], v[78:79]      // 000000006468: D3B0404E 1D3A597E
	s_waitcnt vmcnt(5)                                         // 000000006470: BF8C0F75
	v_mfma_f32_16x16x128_f8f6f4 v[112:115], a[48:55], v[136:143], 0// 000000006474: D3AD0070 0A031130
	buffer_load_dwordx4 a[16:19], v34, s[24:27], 0 offen offset:2048// 00000000647C: E05C1800 80861022
	buffer_load_dwordx4 a[20:23], v34, s[24:27], 0 offen offset:3072// 000000006484: E05C1C00 80861422
	v_mfma_f32_16x16x128_f8f6f4 v[116:119], a[48:55], v[152:159], 0// 00000000648C: D3AD0074 0A033130
	s_waitcnt lgkmcnt(0)                                       // 000000006494: BF8CC07F
	s_barrier                                                  // 000000006498: BF8A0000
	ds_read_b128 v[160:163], v2 offset:9472                    // 00000000649C: D9FE2500 A0000002
	ds_read_b128 v[164:167], v2 offset:9536                    // 0000000064A4: D9FE2540 A4000002
	ds_read_b128 v[168:171], v2 offset:13696                   // 0000000064AC: D9FE3580 A8000002
	ds_read_b128 v[172:175], v2 offset:13760                   // 0000000064B4: D9FE35C0 AC000002
	ds_read_b32 v19, v3 offset:17920                           // 0000000064BC: D86C4600 13000003
	ds_read_b32 v20, v3 offset:18176                           // 0000000064C4: D86C4700 14000003
	v_mfma_f32_16x16x128_f8f6f4 v[120:123], a[56:63], v[136:143], 0// 0000000064CC: D3AD0078 0A031138
	buffer_load_dwordx4 a[24:27], v35, s[24:27], 0 offen offset:2048// 0000000064D4: E05C1800 80861823
	buffer_load_dwordx4 a[28:31], v35, s[24:27], 0 offen offset:3072// 0000000064DC: E05C1C00 80861C23
	v_mfma_f32_16x16x128_f8f6f4 v[124:127], a[56:63], v[152:159], 0// 0000000064E4: D3AD007C 0A033138
	ds_read_b128 v[176:179], v2 offset:9984                    // 0000000064EC: D9FE2700 B0000002
	ds_read_b128 v[180:183], v2 offset:10048                   // 0000000064F4: D9FE2740 B4000002
	ds_read_b128 v[184:187], v2 offset:14208                   // 0000000064FC: D9FE3780 B8000002
	ds_read_b128 v[188:191], v2 offset:14272                   // 000000006504: D9FE37C0 BC000002
	ds_read_b32 v21, v3 offset:18432                           // 00000000650C: D86C4800 15000003
	ds_read_b32 v22, v3 offset:18688                           // 000000006514: D86C4900 16000003
	v_mul_f32_dpp v44, v24, v17 row_newbcast:2 row_mask:0xf bank_mask:0xf// 00000000651C: 0A5822FA FF015218
	v_mov_b32_e32 v45, v44                                     // 000000006524: 7E5A032C
	v_pk_fma_f32 v[64:65], v[112:113], v[44:45], v[64:65]      // 000000006528: D3B04040 1D025970
	v_pk_fma_f32 v[66:67], v[114:115], v[44:45], v[66:67]      // 000000006530: D3B04042 1D0A5972
	v_pk_fma_f32 v[72:73], v[120:121], v[44:45], v[72:73]      // 000000006538: D3B04048 1D225978
	v_pk_fma_f32 v[74:75], v[122:123], v[44:45], v[74:75]      // 000000006540: D3B0404A 1D2A597A
	v_mul_f32_dpp v44, v24, v18 row_newbcast:2 row_mask:0xf bank_mask:0xf// 000000006548: 0A5824FA FF015218
	v_mov_b32_e32 v45, v44                                     // 000000006550: 7E5A032C
	v_pk_fma_f32 v[68:69], v[116:117], v[44:45], v[68:69]      // 000000006554: D3B04044 1D125974
	v_pk_fma_f32 v[70:71], v[118:119], v[44:45], v[70:71]      // 00000000655C: D3B04046 1D1A5976
	v_pk_fma_f32 v[76:77], v[124:125], v[44:45], v[76:77]      // 000000006564: D3B0404C 1D32597C
	v_pk_fma_f32 v[78:79], v[126:127], v[44:45], v[78:79]      // 00000000656C: D3B0404E 1D3A597E
	s_add_u32 s60, 0x200, s80                                  // 000000006574: 803C50FF 00000200
	s_cmp_lt_u32 s60, s81                                      // 00000000657C: BF0A513C
	s_cselect_b32 s57, s57, 0                                  // 000000006580: 85398039
	s_add_u32 s60, 0x200, s80                                  // 000000006584: 803C50FF 00000200
	s_cmp_lt_u32 s60, s81                                      // 00000000658C: BF0A513C
	s_cselect_b32 s58, s58, 0                                  // 000000006590: 853A803A
	s_add_u32 s20, s57, s20                                    // 000000006594: 80141439
	s_addc_u32 s21, 0, s21                                     // 000000006598: 82151580
	s_add_u32 s24, s58, s24                                    // 00000000659C: 8018183A
	s_addc_u32 s25, 0, s25                                     // 0000000065A0: 82191980
	s_add_u32 s92, s90, s92                                    // 0000000065A4: 805C5C5A
	s_addc_u32 s93, 0, s93                                     // 0000000065A8: 825D5D80
	s_addk_i32 s80, 0x100                                      // 0000000065AC: B7500100
	s_cmp_lt_i32 s80, s81                                      // 0000000065B0: BF045150
	s_cbranch_scc0 label_0FE9                                  // 0000000065B4: BF8401FB
	s_waitcnt vmcnt(4) lgkmcnt(0)                              // 0000000065B8: BF8C0074
	s_barrier                                                  // 0000000065BC: BF8A0000
	v_mfma_f32_16x16x128_f8f6f4 v[112:115], a[0:7], v[160:167], 0// 0000000065C0: D3AD0070 0A034100
	buffer_load_dwordx4 v[128:131], v32, s[20:23], 0 offen     // 0000000065C8: E05C1000 80058020
	buffer_load_dwordx4 v[132:135], v32, s[20:23], 0 offen offset:16// 0000000065D0: E05C1010 80058420
	buffer_load_dwordx4 v[136:139], v33, s[20:23], 0 offen     // 0000000065D8: E05C1000 80058821
	buffer_load_dwordx4 v[140:143], v33, s[20:23], 0 offen offset:16// 0000000065E0: E05C1010 80058C21
	buffer_load_dwordx4 a[32:35], v34, s[92:95], 0 offen       // 0000000065E8: E05C1000 80972022
	buffer_load_dwordx4 a[36:39], v34, s[92:95], 0 offen offset:1024// 0000000065F0: E05C1400 80972422
	v_mfma_f32_16x16x128_f8f6f4 v[116:119], a[0:7], v[176:183], 0// 0000000065F8: D3AD0074 0A036100
	v_mfma_f32_16x16x128_f8f6f4 v[120:123], a[8:15], v[160:167], 0// 000000006600: D3AD0078 0A034108
	buffer_load_dwordx4 a[40:43], v35, s[92:95], 0 offen       // 000000006608: E05C1000 80972823
	buffer_load_dwordx4 a[44:47], v35, s[92:95], 0 offen offset:1024// 000000006610: E05C1400 80972C23
	buffer_load_dword v24, v13, s[32:35], 0 offen              // 000000006618: E0501000 8008180D
	v_mfma_f32_16x16x128_f8f6f4 v[124:127], a[8:15], v[176:183], 0// 000000006620: D3AD007C 0A036108
	v_mul_f32_dpp v44, v23, v19 row_newbcast:0 row_mask:0xf bank_mask:0xf// 000000006628: 0A5826FA FF015017
	v_mov_b32_e32 v45, v44                                     // 000000006630: 7E5A032C
	v_pk_fma_f32 v[96:97], v[112:113], v[44:45], v[96:97]      // 000000006634: D3B04060 1D825970
	v_pk_fma_f32 v[98:99], v[114:115], v[44:45], v[98:99]      // 00000000663C: D3B04062 1D8A5972
	v_pk_fma_f32 v[104:105], v[120:121], v[44:45], v[104:105]  // 000000006644: D3B04068 1DA25978
	v_pk_fma_f32 v[106:107], v[122:123], v[44:45], v[106:107]  // 00000000664C: D3B0406A 1DAA597A
	v_mul_f32_dpp v44, v23, v20 row_newbcast:0 row_mask:0xf bank_mask:0xf// 000000006654: 0A5828FA FF015017
	v_mov_b32_e32 v45, v44                                     // 00000000665C: 7E5A032C
	v_pk_fma_f32 v[100:101], v[116:117], v[44:45], v[100:101]  // 000000006660: D3B04064 1D925974
	v_pk_fma_f32 v[102:103], v[118:119], v[44:45], v[102:103]  // 000000006668: D3B04066 1D9A5976
	v_pk_fma_f32 v[108:109], v[124:125], v[44:45], v[108:109]  // 000000006670: D3B0406C 1DB2597C
	v_pk_fma_f32 v[110:111], v[126:127], v[44:45], v[110:111]  // 000000006678: D3B0406E 1DBA597E
	s_waitcnt vmcnt(9)                                         // 000000006680: BF8C0F79
	v_mfma_f32_16x16x128_f8f6f4 v[112:115], a[16:23], v[168:175], 0// 000000006684: D3AD0070 0A035110
	buffer_load_dwordx4 a[48:51], v34, s[92:95], 0 offen offset:2048// 00000000668C: E05C1800 80973022
	buffer_load_dwordx4 a[52:55], v34, s[92:95], 0 offen offset:3072// 000000006694: E05C1C00 80973422
	v_mfma_f32_16x16x128_f8f6f4 v[116:119], a[16:23], v[184:191], 0// 00000000669C: D3AD0074 0A037110
	v_mfma_f32_16x16x128_f8f6f4 v[120:123], a[24:31], v[168:175], 0// 0000000066A4: D3AD0078 0A035118
	buffer_load_dwordx4 a[56:59], v35, s[92:95], 0 offen offset:2048// 0000000066AC: E05C1800 80973823
	buffer_load_dwordx4 a[60:63], v35, s[92:95], 0 offen offset:3072// 0000000066B4: E05C1C00 80973C23
	v_mfma_f32_16x16x128_f8f6f4 v[124:127], a[24:31], v[184:191], 0// 0000000066BC: D3AD007C 0A037118
	v_mul_f32_dpp v44, v23, v21 row_newbcast:2 row_mask:0xf bank_mask:0xf// 0000000066C4: 0A582AFA FF015217
	v_mov_b32_e32 v45, v44                                     // 0000000066CC: 7E5A032C
	v_pk_fma_f32 v[96:97], v[112:113], v[44:45], v[96:97]      // 0000000066D0: D3B04060 1D825970
	v_pk_fma_f32 v[98:99], v[114:115], v[44:45], v[98:99]      // 0000000066D8: D3B04062 1D8A5972
	v_pk_fma_f32 v[104:105], v[120:121], v[44:45], v[104:105]  // 0000000066E0: D3B04068 1DA25978
	v_pk_fma_f32 v[106:107], v[122:123], v[44:45], v[106:107]  // 0000000066E8: D3B0406A 1DAA597A
	v_mul_f32_dpp v44, v23, v22 row_newbcast:2 row_mask:0xf bank_mask:0xf// 0000000066F0: 0A582CFA FF015217
	v_mov_b32_e32 v45, v44                                     // 0000000066F8: 7E5A032C
	v_pk_fma_f32 v[100:101], v[116:117], v[44:45], v[100:101]  // 0000000066FC: D3B04064 1D925974
	v_pk_fma_f32 v[102:103], v[118:119], v[44:45], v[102:103]  // 000000006704: D3B04066 1D9A5976
	v_pk_fma_f32 v[108:109], v[124:125], v[44:45], v[108:109]  // 00000000670C: D3B0406C 1DB2597C
	v_pk_fma_f32 v[110:111], v[126:127], v[44:45], v[110:111]  // 000000006714: D3B0406E 1DBA597E
	s_waitcnt vmcnt(11)                                        // 00000000671C: BF8C0F7B
	v_mov_b32_e32 v28, 0x358637bd                              // 000000006720: 7E3802FF 358637BD
	v_lshlrev_b32_e32 v44, 16, v128                            // 000000006728: 24590090
	v_and_b32_e32 v45, 0xffff0000, v128                        // 00000000672C: 265B00FF FFFF0000
	v_max3_f32 v28, |v45|, |v44|, v28                          // 000000006734: D1D3031C 0472592D
	v_lshlrev_b32_e32 v44, 16, v129                            // 00000000673C: 24590290
	v_and_b32_e32 v45, 0xffff0000, v129                        // 000000006740: 265B02FF FFFF0000
	v_max3_f32 v28, |v45|, |v44|, v28                          // 000000006748: D1D3031C 0472592D
	v_lshlrev_b32_e32 v44, 16, v130                            // 000000006750: 24590490
	v_and_b32_e32 v45, 0xffff0000, v130                        // 000000006754: 265B04FF FFFF0000
	v_max3_f32 v28, |v45|, |v44|, v28                          // 00000000675C: D1D3031C 0472592D
	v_lshlrev_b32_e32 v44, 16, v131                            // 000000006764: 24590690
	v_and_b32_e32 v45, 0xffff0000, v131                        // 000000006768: 265B06FF FFFF0000
	v_max3_f32 v28, |v45|, |v44|, v28                          // 000000006770: D1D3031C 0472592D
	v_lshlrev_b32_e32 v44, 16, v132                            // 000000006778: 24590890
	v_and_b32_e32 v45, 0xffff0000, v132                        // 00000000677C: 265B08FF FFFF0000
	v_max3_f32 v28, |v45|, |v44|, v28                          // 000000006784: D1D3031C 0472592D
	v_lshlrev_b32_e32 v44, 16, v133                            // 00000000678C: 24590A90
	v_and_b32_e32 v45, 0xffff0000, v133                        // 000000006790: 265B0AFF FFFF0000
	v_max3_f32 v28, |v45|, |v44|, v28                          // 000000006798: D1D3031C 0472592D
	v_lshlrev_b32_e32 v44, 16, v134                            // 0000000067A0: 24590C90
	v_and_b32_e32 v45, 0xffff0000, v134                        // 0000000067A4: 265B0CFF FFFF0000
	v_max3_f32 v28, |v45|, |v44|, v28                          // 0000000067AC: D1D3031C 0472592D
	v_lshlrev_b32_e32 v44, 16, v135                            // 0000000067B4: 24590E90
	v_and_b32_e32 v45, 0xffff0000, v135                        // 0000000067B8: 265B0EFF FFFF0000
	v_max3_f32 v28, |v45|, |v44|, v28                          // 0000000067C0: D1D3031C 0472592D
	s_barrier                                                  // 0000000067C8: BF8A0000
	v_max_f32_dpp v29, v28, v28 quad_perm:[1,2,3,0] row_mask:0xf bank_mask:0xf// 0000000067CC: 163A38FA FF00391C
	s_nop 1                                                    // 0000000067D4: BF800001
	v_max_f32_dpp v44, v29, v29 quad_perm:[2,3,0,1] row_mask:0xf bank_mask:0xf// 0000000067D8: 16583AFA FF004E1D
	s_nop 1                                                    // 0000000067E0: BF800001
	v_max_f32_dpp v28, v44, v44 row_half_mirror row_mask:0xf bank_mask:0xf// 0000000067E4: 163858FA FF01412C
	s_mov_b32 s60, 0x43e00000                                  // 0000000067EC: BEBC00FF 43E00000
	s_mov_b32 s61, 0x3b124925                                  // 0000000067F4: BEBD00FF 3B124925
	s_mov_b32 s62, 0xc3e00000                                  // 0000000067FC: BEBE00FF C3E00000
	v_rcp_f32_e32 v44, v28                                     // 000000006804: 7E58451C
	v_mul_f32_e32 v30, s61, v28                                // 000000006808: 0A3C383D
	v_fma_f32 v45, v30, s62, v28                               // 00000000680C: D1CB002D 04707D1E
	v_fma_f32 v30, v45, s61, v30                               // 000000006814: D1CB001E 04787B2D
	v_mul_f32_e32 v29, s60, v44                                // 00000000681C: 0A3A583C
	v_xor_b32_e32 v45, 0x80000000, v28                         // 000000006820: 2A5A38FF 80000000
	v_fma_f32 v45, v45, v29, s60                               // 000000006828: D1CB002D 00F23B2D
	v_fma_f32 v28, v45, v44, v29                               // 000000006830: D1CB001C 0476592D
	v_mov_b32_e32 v29, v28                                     // 000000006838: 7E3A031C
	v_lshlrev_b32_e32 v44, 16, v128                            // 00000000683C: 24590090
	v_and_b32_e32 v45, 0xffff0000, v128                        // 000000006840: 265B00FF FFFF0000
	v_pk_mul_f32 v[44:45], v[44:45], v[28:29]                  // 000000006848: D3B1402C 1802392C
	v_cvt_pk_fp8_f32 v128, v44, v45                            // 000000006850: D2A20080 00025B2C
	v_lshlrev_b32_e32 v44, 16, v129                            // 000000006858: 24590290
	v_and_b32_e32 v45, 0xffff0000, v129                        // 00000000685C: 265B02FF FFFF0000
	v_pk_mul_f32 v[44:45], v[44:45], v[28:29]                  // 000000006864: D3B1402C 1802392C
	v_cvt_pk_fp8_f32 v128, v44, v45 op_sel:[0,0,1]             // 00000000686C: D2A24080 00025B2C
	v_lshlrev_b32_e32 v44, 16, v130                            // 000000006874: 24590490
	v_and_b32_e32 v45, 0xffff0000, v130                        // 000000006878: 265B04FF FFFF0000
	v_pk_mul_f32 v[44:45], v[44:45], v[28:29]                  // 000000006880: D3B1402C 1802392C
	v_cvt_pk_fp8_f32 v129, v44, v45                            // 000000006888: D2A20081 00025B2C
	v_lshlrev_b32_e32 v44, 16, v131                            // 000000006890: 24590690
	v_and_b32_e32 v45, 0xffff0000, v131                        // 000000006894: 265B06FF FFFF0000
	v_pk_mul_f32 v[44:45], v[44:45], v[28:29]                  // 00000000689C: D3B1402C 1802392C
	v_cvt_pk_fp8_f32 v129, v44, v45 op_sel:[0,0,1]             // 0000000068A4: D2A24081 00025B2C
	v_lshlrev_b32_e32 v44, 16, v132                            // 0000000068AC: 24590890
	v_and_b32_e32 v45, 0xffff0000, v132                        // 0000000068B0: 265B08FF FFFF0000
	v_pk_mul_f32 v[44:45], v[44:45], v[28:29]                  // 0000000068B8: D3B1402C 1802392C
	v_cvt_pk_fp8_f32 v130, v44, v45                            // 0000000068C0: D2A20082 00025B2C
	v_lshlrev_b32_e32 v44, 16, v133                            // 0000000068C8: 24590A90
	v_and_b32_e32 v45, 0xffff0000, v133                        // 0000000068CC: 265B0AFF FFFF0000
	v_pk_mul_f32 v[44:45], v[44:45], v[28:29]                  // 0000000068D4: D3B1402C 1802392C
	v_cvt_pk_fp8_f32 v130, v44, v45 op_sel:[0,0,1]             // 0000000068DC: D2A24082 00025B2C
	v_lshlrev_b32_e32 v44, 16, v134                            // 0000000068E4: 24590C90
	v_and_b32_e32 v45, 0xffff0000, v134                        // 0000000068E8: 265B0CFF FFFF0000
	v_pk_mul_f32 v[44:45], v[44:45], v[28:29]                  // 0000000068F0: D3B1402C 1802392C
	v_cvt_pk_fp8_f32 v131, v44, v45                            // 0000000068F8: D2A20083 00025B2C
	v_lshlrev_b32_e32 v44, 16, v135                            // 000000006900: 24590E90
	v_and_b32_e32 v45, 0xffff0000, v135                        // 000000006904: 265B0EFF FFFF0000
	v_pk_mul_f32 v[44:45], v[44:45], v[28:29]                  // 00000000690C: D3B1402C 1802392C
	v_cvt_pk_fp8_f32 v131, v44, v45 op_sel:[0,0,1]             // 000000006914: D2A24083 00025B2C
	v_lshlrev_b32_e32 v44, 4, v0                               // 00000000691C: 24580084
	v_add_u32_e64 v44, v44, s50                                // 000000006920: D134002C 0000652C
	ds_write_b128 v44, v[128:131]                              // 000000006928: D9BE0000 0000802C
	v_add_u32_e32 v44, 0, v31                                  // 000000006930: 68583E80
	s_mov_b64 s[60:61], exec                                   // 000000006934: BEBC017E
	s_mov_b32 s62, 0xf0f0f0f                                   // 000000006938: BEBE00FF 0F0F0F0F
	s_mov_b32 s63, 0xf0f0f0f                                   // 000000006940: BEBF00FF 0F0F0F0F
	s_mov_b64 exec, s[62:63]                                   // 000000006948: BEFE013E
	ds_write_b32 v44, v30 offset:8448                          // 00000000694C: D81A2100 00001E2C
	s_mov_b64 exec, s[60:61]                                   // 000000006954: BEFE013C
	s_add_u32 s60, 0x100, s80                                  // 000000006958: 803C50FF 00000100
	s_cmp_lt_u32 s60, s81                                      // 000000006960: BF0A513C
	s_cselect_b32 s4, s4, 0                                    // 000000006964: 85048004
	s_add_u32 s32, s4, s32                                     // 000000006968: 80202004
	s_addc_u32 s33, 0, s33                                     // 00000000696C: 82212180
	s_waitcnt vmcnt(4)                                         // 000000006970: BF8C0F74
	s_barrier                                                  // 000000006974: BF8A0000
	v_mfma_f32_16x16x128_f8f6f4 v[112:115], a[32:39], v[160:167], 0// 000000006978: D3AD0070 0A034120
	buffer_load_dwordx4 a[0:3], v34, s[24:27], 0 offen         // 000000006980: E05C1000 80860022
	buffer_load_dwordx4 a[4:7], v34, s[24:27], 0 offen offset:1024// 000000006988: E05C1400 80860422
	buffer_load_dword v23, v11, s[32:35], 0 offen              // 000000006990: E0501000 8008170B
	v_mfma_f32_16x16x128_f8f6f4 v[116:119], a[32:39], v[176:183], 0// 000000006998: D3AD0074 0A036120
	v_mfma_f32_16x16x128_f8f6f4 v[120:123], a[40:47], v[160:167], 0// 0000000069A0: D3AD0078 0A034128
	buffer_load_dwordx4 a[8:11], v35, s[24:27], 0 offen        // 0000000069A8: E05C1000 80860823
	buffer_load_dwordx4 a[12:15], v35, s[24:27], 0 offen offset:1024// 0000000069B0: E05C1400 80860C23
	v_mfma_f32_16x16x128_f8f6f4 v[124:127], a[40:47], v[176:183], 0// 0000000069B8: D3AD007C 0A036128
	s_waitcnt vmcnt(14)                                        // 0000000069C0: BF8C0F7E
	v_mov_b32_e32 v28, 0x358637bd                              // 0000000069C4: 7E3802FF 358637BD
	v_lshlrev_b32_e32 v44, 16, v136                            // 0000000069CC: 24591090
	v_and_b32_e32 v45, 0xffff0000, v136                        // 0000000069D0: 265B10FF FFFF0000
	v_max3_f32 v28, |v45|, |v44|, v28                          // 0000000069D8: D1D3031C 0472592D
	v_lshlrev_b32_e32 v44, 16, v137                            // 0000000069E0: 24591290
	v_and_b32_e32 v45, 0xffff0000, v137                        // 0000000069E4: 265B12FF FFFF0000
	v_max3_f32 v28, |v45|, |v44|, v28                          // 0000000069EC: D1D3031C 0472592D
	v_lshlrev_b32_e32 v44, 16, v138                            // 0000000069F4: 24591490
	v_and_b32_e32 v45, 0xffff0000, v138                        // 0000000069F8: 265B14FF FFFF0000
	v_max3_f32 v28, |v45|, |v44|, v28                          // 000000006A00: D1D3031C 0472592D
	v_lshlrev_b32_e32 v44, 16, v139                            // 000000006A08: 24591690
	v_and_b32_e32 v45, 0xffff0000, v139                        // 000000006A0C: 265B16FF FFFF0000
	v_max3_f32 v28, |v45|, |v44|, v28                          // 000000006A14: D1D3031C 0472592D
	v_lshlrev_b32_e32 v44, 16, v140                            // 000000006A1C: 24591890
	v_and_b32_e32 v45, 0xffff0000, v140                        // 000000006A20: 265B18FF FFFF0000
	v_max3_f32 v28, |v45|, |v44|, v28                          // 000000006A28: D1D3031C 0472592D
	v_lshlrev_b32_e32 v44, 16, v141                            // 000000006A30: 24591A90
	v_and_b32_e32 v45, 0xffff0000, v141                        // 000000006A34: 265B1AFF FFFF0000
	v_max3_f32 v28, |v45|, |v44|, v28                          // 000000006A3C: D1D3031C 0472592D
	v_lshlrev_b32_e32 v44, 16, v142                            // 000000006A44: 24591C90
	v_and_b32_e32 v45, 0xffff0000, v142                        // 000000006A48: 265B1CFF FFFF0000
	v_max3_f32 v28, |v45|, |v44|, v28                          // 000000006A50: D1D3031C 0472592D
	v_lshlrev_b32_e32 v44, 16, v143                            // 000000006A58: 24591E90
	v_and_b32_e32 v45, 0xffff0000, v143                        // 000000006A5C: 265B1EFF FFFF0000
	v_max3_f32 v28, |v45|, |v44|, v28                          // 000000006A64: D1D3031C 0472592D
	s_barrier                                                  // 000000006A6C: BF8A0000
	v_max_f32_dpp v29, v28, v28 quad_perm:[1,2,3,0] row_mask:0xf bank_mask:0xf// 000000006A70: 163A38FA FF00391C
	s_nop 1                                                    // 000000006A78: BF800001
	v_max_f32_dpp v44, v29, v29 quad_perm:[2,3,0,1] row_mask:0xf bank_mask:0xf// 000000006A7C: 16583AFA FF004E1D
	s_nop 1                                                    // 000000006A84: BF800001
	v_max_f32_dpp v28, v44, v44 row_half_mirror row_mask:0xf bank_mask:0xf// 000000006A88: 163858FA FF01412C
	s_mov_b32 s60, 0x43e00000                                  // 000000006A90: BEBC00FF 43E00000
	s_mov_b32 s61, 0x3b124925                                  // 000000006A98: BEBD00FF 3B124925
	s_mov_b32 s62, 0xc3e00000                                  // 000000006AA0: BEBE00FF C3E00000
	v_rcp_f32_e32 v44, v28                                     // 000000006AA8: 7E58451C
	v_mul_f32_e32 v30, s61, v28                                // 000000006AAC: 0A3C383D
	v_fma_f32 v45, v30, s62, v28                               // 000000006AB0: D1CB002D 04707D1E
	v_fma_f32 v30, v45, s61, v30                               // 000000006AB8: D1CB001E 04787B2D
	v_mul_f32_e32 v29, s60, v44                                // 000000006AC0: 0A3A583C
	v_xor_b32_e32 v45, 0x80000000, v28                         // 000000006AC4: 2A5A38FF 80000000
	v_fma_f32 v45, v45, v29, s60                               // 000000006ACC: D1CB002D 00F23B2D
	v_fma_f32 v28, v45, v44, v29                               // 000000006AD4: D1CB001C 0476592D
	v_mov_b32_e32 v29, v28                                     // 000000006ADC: 7E3A031C
	v_lshlrev_b32_e32 v44, 16, v136                            // 000000006AE0: 24591090
	v_and_b32_e32 v45, 0xffff0000, v136                        // 000000006AE4: 265B10FF FFFF0000
	v_pk_mul_f32 v[44:45], v[44:45], v[28:29]                  // 000000006AEC: D3B1402C 1802392C
	v_cvt_pk_fp8_f32 v136, v44, v45                            // 000000006AF4: D2A20088 00025B2C
	v_lshlrev_b32_e32 v44, 16, v137                            // 000000006AFC: 24591290
	v_and_b32_e32 v45, 0xffff0000, v137                        // 000000006B00: 265B12FF FFFF0000
	v_pk_mul_f32 v[44:45], v[44:45], v[28:29]                  // 000000006B08: D3B1402C 1802392C
	v_cvt_pk_fp8_f32 v136, v44, v45 op_sel:[0,0,1]             // 000000006B10: D2A24088 00025B2C
	v_lshlrev_b32_e32 v44, 16, v138                            // 000000006B18: 24591490
	v_and_b32_e32 v45, 0xffff0000, v138                        // 000000006B1C: 265B14FF FFFF0000
	v_pk_mul_f32 v[44:45], v[44:45], v[28:29]                  // 000000006B24: D3B1402C 1802392C
	v_cvt_pk_fp8_f32 v137, v44, v45                            // 000000006B2C: D2A20089 00025B2C
	v_lshlrev_b32_e32 v44, 16, v139                            // 000000006B34: 24591690
	v_and_b32_e32 v45, 0xffff0000, v139                        // 000000006B38: 265B16FF FFFF0000
	v_pk_mul_f32 v[44:45], v[44:45], v[28:29]                  // 000000006B40: D3B1402C 1802392C
	v_cvt_pk_fp8_f32 v137, v44, v45 op_sel:[0,0,1]             // 000000006B48: D2A24089 00025B2C
	v_lshlrev_b32_e32 v44, 16, v140                            // 000000006B50: 24591890
	v_and_b32_e32 v45, 0xffff0000, v140                        // 000000006B54: 265B18FF FFFF0000
	v_pk_mul_f32 v[44:45], v[44:45], v[28:29]                  // 000000006B5C: D3B1402C 1802392C
	v_cvt_pk_fp8_f32 v138, v44, v45                            // 000000006B64: D2A2008A 00025B2C
	v_lshlrev_b32_e32 v44, 16, v141                            // 000000006B6C: 24591A90
	v_and_b32_e32 v45, 0xffff0000, v141                        // 000000006B70: 265B1AFF FFFF0000
	v_pk_mul_f32 v[44:45], v[44:45], v[28:29]                  // 000000006B78: D3B1402C 1802392C
	v_cvt_pk_fp8_f32 v138, v44, v45 op_sel:[0,0,1]             // 000000006B80: D2A2408A 00025B2C
	v_lshlrev_b32_e32 v44, 16, v142                            // 000000006B88: 24591C90
	v_and_b32_e32 v45, 0xffff0000, v142                        // 000000006B8C: 265B1CFF FFFF0000
	v_pk_mul_f32 v[44:45], v[44:45], v[28:29]                  // 000000006B94: D3B1402C 1802392C
	v_cvt_pk_fp8_f32 v139, v44, v45                            // 000000006B9C: D2A2008B 00025B2C
	v_lshlrev_b32_e32 v44, 16, v143                            // 000000006BA4: 24591E90
	v_and_b32_e32 v45, 0xffff0000, v143                        // 000000006BA8: 265B1EFF FFFF0000
	v_pk_mul_f32 v[44:45], v[44:45], v[28:29]                  // 000000006BB0: D3B1402C 1802392C
	v_cvt_pk_fp8_f32 v139, v44, v45 op_sel:[0,0,1]             // 000000006BB8: D2A2408B 00025B2C
	v_lshlrev_b32_e32 v44, 4, v0                               // 000000006BC0: 24580084
	v_add_u32_e64 v44, v44, s50                                // 000000006BC4: D134002C 0000652C
	ds_write_b128 v44, v[136:139] offset:4224                  // 000000006BCC: D9BE1080 0000882C
	v_add_u32_e32 v44, 0x200, v31                              // 000000006BD4: 68583EFF 00000200
	s_mov_b64 s[60:61], exec                                   // 000000006BDC: BEBC017E
	s_mov_b32 s62, 0xf0f0f0f                                   // 000000006BE0: BEBE00FF 0F0F0F0F
	s_mov_b32 s63, 0xf0f0f0f                                   // 000000006BE8: BEBF00FF 0F0F0F0F
	s_mov_b64 exec, s[62:63]                                   // 000000006BF0: BEFE013E
	ds_write_b32 v44, v30 offset:8448                          // 000000006BF4: D81A2100 00001E2C
	s_mov_b64 exec, s[60:61]                                   // 000000006BFC: BEFE013C
	v_mul_f32_dpp v44, v24, v19 row_newbcast:0 row_mask:0xf bank_mask:0xf// 000000006C00: 0A5826FA FF015018
	v_mov_b32_e32 v45, v44                                     // 000000006C08: 7E5A032C
	v_pk_fma_f32 v[64:65], v[112:113], v[44:45], v[64:65]      // 000000006C0C: D3B04040 1D025970
	v_pk_fma_f32 v[66:67], v[114:115], v[44:45], v[66:67]      // 000000006C14: D3B04042 1D0A5972
	v_pk_fma_f32 v[72:73], v[120:121], v[44:45], v[72:73]      // 000000006C1C: D3B04048 1D225978
	v_pk_fma_f32 v[74:75], v[122:123], v[44:45], v[74:75]      // 000000006C24: D3B0404A 1D2A597A
	v_mul_f32_dpp v44, v24, v20 row_newbcast:0 row_mask:0xf bank_mask:0xf// 000000006C2C: 0A5828FA FF015018
	v_mov_b32_e32 v45, v44                                     // 000000006C34: 7E5A032C
	v_pk_fma_f32 v[68:69], v[116:117], v[44:45], v[68:69]      // 000000006C38: D3B04044 1D125974
	v_pk_fma_f32 v[70:71], v[118:119], v[44:45], v[70:71]      // 000000006C40: D3B04046 1D1A5976
	v_pk_fma_f32 v[76:77], v[124:125], v[44:45], v[76:77]      // 000000006C48: D3B0404C 1D32597C
	v_pk_fma_f32 v[78:79], v[126:127], v[44:45], v[78:79]      // 000000006C50: D3B0404E 1D3A597E
	s_waitcnt vmcnt(5)                                         // 000000006C58: BF8C0F75
	v_mfma_f32_16x16x128_f8f6f4 v[112:115], a[48:55], v[168:175], 0// 000000006C5C: D3AD0070 0A035130
	buffer_load_dwordx4 a[16:19], v34, s[24:27], 0 offen offset:2048// 000000006C64: E05C1800 80861022
	buffer_load_dwordx4 a[20:23], v34, s[24:27], 0 offen offset:3072// 000000006C6C: E05C1C00 80861422
	v_mfma_f32_16x16x128_f8f6f4 v[116:119], a[48:55], v[184:191], 0// 000000006C74: D3AD0074 0A037130
	s_waitcnt lgkmcnt(0)                                       // 000000006C7C: BF8CC07F
	s_barrier                                                  // 000000006C80: BF8A0000
	ds_read_b128 v[128:131], v2                                // 000000006C84: D9FE0000 80000002
	ds_read_b128 v[132:135], v2 offset:64                      // 000000006C8C: D9FE0040 84000002
	ds_read_b128 v[136:139], v2 offset:4224                    // 000000006C94: D9FE1080 88000002
	ds_read_b128 v[140:143], v2 offset:4288                    // 000000006C9C: D9FE10C0 8C000002
	ds_read_b32 v15, v3 offset:8448                            // 000000006CA4: D86C2100 0F000003
	ds_read_b32 v16, v3 offset:8704                            // 000000006CAC: D86C2200 10000003
	v_mfma_f32_16x16x128_f8f6f4 v[120:123], a[56:63], v[168:175], 0// 000000006CB4: D3AD0078 0A035138
	buffer_load_dwordx4 a[24:27], v35, s[24:27], 0 offen offset:2048// 000000006CBC: E05C1800 80861823
	buffer_load_dwordx4 a[28:31], v35, s[24:27], 0 offen offset:3072// 000000006CC4: E05C1C00 80861C23
	v_mfma_f32_16x16x128_f8f6f4 v[124:127], a[56:63], v[184:191], 0// 000000006CCC: D3AD007C 0A037138
	ds_read_b128 v[144:147], v2 offset:512                     // 000000006CD4: D9FE0200 90000002
	ds_read_b128 v[148:151], v2 offset:576                     // 000000006CDC: D9FE0240 94000002
	ds_read_b128 v[152:155], v2 offset:4736                    // 000000006CE4: D9FE1280 98000002
	ds_read_b128 v[156:159], v2 offset:4800                    // 000000006CEC: D9FE12C0 9C000002
	ds_read_b32 v17, v3 offset:8960                            // 000000006CF4: D86C2300 11000003
	ds_read_b32 v18, v3 offset:9216                            // 000000006CFC: D86C2400 12000003
	v_mul_f32_dpp v44, v24, v21 row_newbcast:2 row_mask:0xf bank_mask:0xf// 000000006D04: 0A582AFA FF015218
	v_mov_b32_e32 v45, v44                                     // 000000006D0C: 7E5A032C
	v_pk_fma_f32 v[64:65], v[112:113], v[44:45], v[64:65]      // 000000006D10: D3B04040 1D025970
	v_pk_fma_f32 v[66:67], v[114:115], v[44:45], v[66:67]      // 000000006D18: D3B04042 1D0A5972
	v_pk_fma_f32 v[72:73], v[120:121], v[44:45], v[72:73]      // 000000006D20: D3B04048 1D225978
	v_pk_fma_f32 v[74:75], v[122:123], v[44:45], v[74:75]      // 000000006D28: D3B0404A 1D2A597A
	v_mul_f32_dpp v44, v24, v22 row_newbcast:2 row_mask:0xf bank_mask:0xf// 000000006D30: 0A582CFA FF015218
	v_mov_b32_e32 v45, v44                                     // 000000006D38: 7E5A032C
	v_pk_fma_f32 v[68:69], v[116:117], v[44:45], v[68:69]      // 000000006D3C: D3B04044 1D125974
	v_pk_fma_f32 v[70:71], v[118:119], v[44:45], v[70:71]      // 000000006D44: D3B04046 1D1A5976
	v_pk_fma_f32 v[76:77], v[124:125], v[44:45], v[76:77]      // 000000006D4C: D3B0404C 1D32597C
	v_pk_fma_f32 v[78:79], v[126:127], v[44:45], v[78:79]      // 000000006D54: D3B0404E 1D3A597E
	s_add_u32 s60, 0x200, s80                                  // 000000006D5C: 803C50FF 00000200
	s_cmp_lt_u32 s60, s81                                      // 000000006D64: BF0A513C
	s_cselect_b32 s57, s57, 0                                  // 000000006D68: 85398039
	s_add_u32 s60, 0x200, s80                                  // 000000006D6C: 803C50FF 00000200
	s_cmp_lt_u32 s60, s81                                      // 000000006D74: BF0A513C
	s_cselect_b32 s58, s58, 0                                  // 000000006D78: 853A803A
	s_add_u32 s20, s57, s20                                    // 000000006D7C: 80141439
	s_addc_u32 s21, 0, s21                                     // 000000006D80: 82151580
	s_add_u32 s24, s58, s24                                    // 000000006D84: 8018183A
	s_addc_u32 s25, 0, s25                                     // 000000006D88: 82191980
	s_add_u32 s92, s90, s92                                    // 000000006D8C: 805C5C5A
	s_addc_u32 s93, 0, s93                                     // 000000006D90: 825D5D80
	s_addk_i32 s80, 0x100                                      // 000000006D94: B7500100
	s_cmp_lt_i32 s80, s81                                      // 000000006D98: BF045150
	s_cbranch_scc0 label_0FE9                                  // 000000006D9C: BF840001
	s_branch label_0BF4                                        // 000000006DA0: BF82FC0B

0000000000006da4 <label_0FE9>:
	s_mov_b32 s20, 0                                           // 000000006DA4: BE940080
	s_cmp_lt_u32 s89, s66                                      // 000000006DA8: BF0A4259
	s_cselect_b32 s60, 0, 1                                    // 000000006DAC: 853C8180
	s_lshl1_add_u32 s20, s20, s60                              // 000000006DB0: 97143C14
	s_cmp_lt_u32 s88, s66                                      // 000000006DB4: BF0A4258
	s_cselect_b32 s60, 0, 1                                    // 000000006DB8: 853C8180
	s_lshl1_add_u32 s20, s20, s60                              // 000000006DBC: 97143C14
	s_cmp_lt_u32 s87, s66                                      // 000000006DC0: BF0A4257
	s_cselect_b32 s60, 0, 1                                    // 000000006DC4: 853C8180
	s_lshl1_add_u32 s20, s20, s60                              // 000000006DC8: 97143C14
	s_cmp_lt_u32 s86, s66                                      // 000000006DCC: BF0A4256
	s_cselect_b32 s60, 0, 1                                    // 000000006DD0: 853C8180
	s_lshl1_add_u32 s20, s20, s60                              // 000000006DD4: 97143C14
	s_cmp_lt_u32 s85, s66                                      // 000000006DD8: BF0A4255
	s_cselect_b32 s60, 0, 1                                    // 000000006DDC: 853C8180
	s_lshl1_add_u32 s20, s20, s60                              // 000000006DE0: 97143C14
	s_cmp_lt_u32 s84, s66                                      // 000000006DE4: BF0A4254
	s_cselect_b32 s60, 0, 1                                    // 000000006DE8: 853C8180
	s_lshl1_add_u32 s20, s20, s60                              // 000000006DEC: 97143C14
	s_cmp_lt_u32 s83, s66                                      // 000000006DF0: BF0A4253
	s_cselect_b32 s60, 0, 1                                    // 000000006DF4: 853C8180
	s_lshl1_add_u32 s20, s20, s60                              // 000000006DF8: 97143C14
	s_cmp_lt_u32 s82, s66                                      // 000000006DFC: BF0A4252
	s_cselect_b32 s60, 0, 1                                    // 000000006E00: 853C8180
	s_lshl1_add_u32 s20, s20, s60                              // 000000006E04: 97143C14
	s_waitcnt vmcnt(4)                                         // 000000006E08: BF8C0F74
	buffer_load_dwordx4 a[0:3], v36, s[12:15], 0 offen         // 000000006E0C: E05C1000 80830024
	v_mul_f32_e32 v44, v96, v96                                // 000000006E14: 0A58C160
	v_mul_f32_e32 v45, v97, v97                                // 000000006E18: 0A5AC361
	v_mul_f32_e32 v46, v98, v98                                // 000000006E1C: 0A5CC562
	v_mul_f32_e32 v47, v99, v99                                // 000000006E20: 0A5EC763
	v_fma_f32 v44, v44, s77, v1                                // 000000006E24: D1CB002C 04049B2C
	v_fma_f32 v45, v45, s77, v1                                // 000000006E2C: D1CB002D 04049B2D
	v_fma_f32 v46, v46, s77, v1                                // 000000006E34: D1CB002E 04049B2E
	v_fma_f32 v47, v47, s77, v1                                // 000000006E3C: D1CB002F 04049B2F
	v_mul_f32_e32 v44, v44, v96                                // 000000006E44: 0A58C12C
	v_mul_f32_e32 v45, v45, v97                                // 000000006E48: 0A5AC32D
	v_mul_f32_e32 v46, v46, v98                                // 000000006E4C: 0A5CC52E
	v_mul_f32_e32 v47, v47, v99                                // 000000006E50: 0A5EC72F
	v_mul_f32_e64 v44, v44, s6                                 // 000000006E54: D105002C 00000D2C
	v_mul_f32_e64 v45, v45, s6                                 // 000000006E5C: D105002D 00000D2D
	v_mul_f32_e64 v46, v46, s6                                 // 000000006E64: D105002E 00000D2E
	v_mul_f32_e64 v47, v47, s6                                 // 000000006E6C: D105002F 00000D2F
	v_exp_f32_e32 v44, v44                                     // 000000006E74: 7E58412C
	v_exp_f32_e32 v45, v45                                     // 000000006E78: 7E5A412D
	v_exp_f32_e32 v46, v46                                     // 000000006E7C: 7E5C412E
	v_exp_f32_e32 v47, v47                                     // 000000006E80: 7E5E412F
	buffer_load_dwordx4 a[4:7], v36, s[12:15], 0 offen offset:1024// 000000006E84: E05C1400 80830424
	v_add_f32_e64 v44, v44, 1.0                                // 000000006E8C: D101002C 0001E52C
	v_add_f32_e64 v45, v45, 1.0                                // 000000006E94: D101002D 0001E52D
	v_add_f32_e64 v46, v46, 1.0                                // 000000006E9C: D101002E 0001E52E
	v_add_f32_e64 v47, v47, 1.0                                // 000000006EA4: D101002F 0001E52F
	v_rcp_f32_e32 v44, v44                                     // 000000006EAC: 7E58452C
	v_rcp_f32_e32 v45, v45                                     // 000000006EB0: 7E5A452D
	v_rcp_f32_e32 v46, v46                                     // 000000006EB4: 7E5C452E
	v_rcp_f32_e32 v47, v47                                     // 000000006EB8: 7E5E452F
	v_mul_f32_e32 v96, v96, v44                                // 000000006EBC: 0AC05960
	v_mul_f32_e32 v97, v97, v45                                // 000000006EC0: 0AC25B61
	v_mul_f32_e32 v98, v98, v46                                // 000000006EC4: 0AC45D62
	v_mul_f32_e32 v99, v99, v47                                // 000000006EC8: 0AC65F63
	v_mul_f32_e32 v96, v96, v64                                // 000000006ECC: 0AC08160
	v_mul_f32_e32 v97, v97, v65                                // 000000006ED0: 0AC28361
	v_mul_f32_e32 v98, v98, v66                                // 000000006ED4: 0AC48562
	v_mul_f32_e32 v99, v99, v67                                // 000000006ED8: 0AC68763
	buffer_load_dwordx4 a[8:11], v37, s[12:15], 0 offen        // 000000006EDC: E05C1000 80830825
	v_mul_f32_e32 v44, v100, v100                              // 000000006EE4: 0A58C964
	v_mul_f32_e32 v45, v101, v101                              // 000000006EE8: 0A5ACB65
	v_mul_f32_e32 v46, v102, v102                              // 000000006EEC: 0A5CCD66
	v_mul_f32_e32 v47, v103, v103                              // 000000006EF0: 0A5ECF67
	v_fma_f32 v44, v44, s77, v1                                // 000000006EF4: D1CB002C 04049B2C
	v_fma_f32 v45, v45, s77, v1                                // 000000006EFC: D1CB002D 04049B2D
	v_fma_f32 v46, v46, s77, v1                                // 000000006F04: D1CB002E 04049B2E
	v_fma_f32 v47, v47, s77, v1                                // 000000006F0C: D1CB002F 04049B2F
	v_mul_f32_e32 v44, v44, v100                               // 000000006F14: 0A58C92C
	v_mul_f32_e32 v45, v45, v101                               // 000000006F18: 0A5ACB2D
	v_mul_f32_e32 v46, v46, v102                               // 000000006F1C: 0A5CCD2E
	v_mul_f32_e32 v47, v47, v103                               // 000000006F20: 0A5ECF2F
	v_mul_f32_e64 v44, v44, s6                                 // 000000006F24: D105002C 00000D2C
	v_mul_f32_e64 v45, v45, s6                                 // 000000006F2C: D105002D 00000D2D
	v_mul_f32_e64 v46, v46, s6                                 // 000000006F34: D105002E 00000D2E
	v_mul_f32_e64 v47, v47, s6                                 // 000000006F3C: D105002F 00000D2F
	v_exp_f32_e32 v44, v44                                     // 000000006F44: 7E58412C
	v_exp_f32_e32 v45, v45                                     // 000000006F48: 7E5A412D
	v_exp_f32_e32 v46, v46                                     // 000000006F4C: 7E5C412E
	v_exp_f32_e32 v47, v47                                     // 000000006F50: 7E5E412F
	buffer_load_dwordx4 a[12:15], v37, s[12:15], 0 offen offset:1024// 000000006F54: E05C1400 80830C25
	v_add_f32_e64 v44, v44, 1.0                                // 000000006F5C: D101002C 0001E52C
	v_add_f32_e64 v45, v45, 1.0                                // 000000006F64: D101002D 0001E52D
	v_add_f32_e64 v46, v46, 1.0                                // 000000006F6C: D101002E 0001E52E
	v_add_f32_e64 v47, v47, 1.0                                // 000000006F74: D101002F 0001E52F
	v_rcp_f32_e32 v44, v44                                     // 000000006F7C: 7E58452C
	v_rcp_f32_e32 v45, v45                                     // 000000006F80: 7E5A452D
	v_rcp_f32_e32 v46, v46                                     // 000000006F84: 7E5C452E
	v_rcp_f32_e32 v47, v47                                     // 000000006F88: 7E5E452F
	v_mul_f32_e32 v100, v100, v44                              // 000000006F8C: 0AC85964
	v_mul_f32_e32 v101, v101, v45                              // 000000006F90: 0ACA5B65
	v_mul_f32_e32 v102, v102, v46                              // 000000006F94: 0ACC5D66
	v_mul_f32_e32 v103, v103, v47                              // 000000006F98: 0ACE5F67
	v_mul_f32_e32 v100, v100, v68                              // 000000006F9C: 0AC88964
	v_mul_f32_e32 v101, v101, v69                              // 000000006FA0: 0ACA8B65
	v_mul_f32_e32 v102, v102, v70                              // 000000006FA4: 0ACC8D66
	v_mul_f32_e32 v103, v103, v71                              // 000000006FA8: 0ACE8F67
	s_waitcnt vmcnt(4)                                         // 000000006FAC: BF8C0F74
	buffer_load_dwordx4 a[16:19], v38, s[12:15], 0 offen       // 000000006FB0: E05C1000 80831026
	v_mul_f32_e32 v44, v104, v104                              // 000000006FB8: 0A58D168
	v_mul_f32_e32 v45, v105, v105                              // 000000006FBC: 0A5AD369
	v_mul_f32_e32 v46, v106, v106                              // 000000006FC0: 0A5CD56A
	v_mul_f32_e32 v47, v107, v107                              // 000000006FC4: 0A5ED76B
	v_fma_f32 v44, v44, s77, v1                                // 000000006FC8: D1CB002C 04049B2C
	v_fma_f32 v45, v45, s77, v1                                // 000000006FD0: D1CB002D 04049B2D
	v_fma_f32 v46, v46, s77, v1                                // 000000006FD8: D1CB002E 04049B2E
	v_fma_f32 v47, v47, s77, v1                                // 000000006FE0: D1CB002F 04049B2F
	v_mul_f32_e32 v44, v44, v104                               // 000000006FE8: 0A58D12C
	v_mul_f32_e32 v45, v45, v105                               // 000000006FEC: 0A5AD32D
	v_mul_f32_e32 v46, v46, v106                               // 000000006FF0: 0A5CD52E
	v_mul_f32_e32 v47, v47, v107                               // 000000006FF4: 0A5ED72F
	v_mul_f32_e64 v44, v44, s6                                 // 000000006FF8: D105002C 00000D2C
	v_mul_f32_e64 v45, v45, s6                                 // 000000007000: D105002D 00000D2D
	v_mul_f32_e64 v46, v46, s6                                 // 000000007008: D105002E 00000D2E
	v_mul_f32_e64 v47, v47, s6                                 // 000000007010: D105002F 00000D2F
	v_exp_f32_e32 v44, v44                                     // 000000007018: 7E58412C
	v_exp_f32_e32 v45, v45                                     // 00000000701C: 7E5A412D
	v_exp_f32_e32 v46, v46                                     // 000000007020: 7E5C412E
	v_exp_f32_e32 v47, v47                                     // 000000007024: 7E5E412F
	buffer_load_dwordx4 a[20:23], v38, s[12:15], 0 offen offset:1024// 000000007028: E05C1400 80831426
	v_add_f32_e64 v44, v44, 1.0                                // 000000007030: D101002C 0001E52C
	v_add_f32_e64 v45, v45, 1.0                                // 000000007038: D101002D 0001E52D
	v_add_f32_e64 v46, v46, 1.0                                // 000000007040: D101002E 0001E52E
	v_add_f32_e64 v47, v47, 1.0                                // 000000007048: D101002F 0001E52F
	v_rcp_f32_e32 v44, v44                                     // 000000007050: 7E58452C
	v_rcp_f32_e32 v45, v45                                     // 000000007054: 7E5A452D
	v_rcp_f32_e32 v46, v46                                     // 000000007058: 7E5C452E
	v_rcp_f32_e32 v47, v47                                     // 00000000705C: 7E5E452F
	v_mul_f32_e32 v104, v104, v44                              // 000000007060: 0AD05968
	v_mul_f32_e32 v105, v105, v45                              // 000000007064: 0AD25B69
	v_mul_f32_e32 v106, v106, v46                              // 000000007068: 0AD45D6A
	v_mul_f32_e32 v107, v107, v47                              // 00000000706C: 0AD65F6B
	v_mul_f32_e32 v104, v104, v72                              // 000000007070: 0AD09168
	v_mul_f32_e32 v105, v105, v73                              // 000000007074: 0AD29369
	v_mul_f32_e32 v106, v106, v74                              // 000000007078: 0AD4956A
	v_mul_f32_e32 v107, v107, v75                              // 00000000707C: 0AD6976B
	buffer_load_dwordx4 a[24:27], v39, s[12:15], 0 offen       // 000000007080: E05C1000 80831827
	v_mul_f32_e32 v44, v108, v108                              // 000000007088: 0A58D96C
	v_mul_f32_e32 v45, v109, v109                              // 00000000708C: 0A5ADB6D
	v_mul_f32_e32 v46, v110, v110                              // 000000007090: 0A5CDD6E
	v_mul_f32_e32 v47, v111, v111                              // 000000007094: 0A5EDF6F
	v_fma_f32 v44, v44, s77, v1                                // 000000007098: D1CB002C 04049B2C
	v_fma_f32 v45, v45, s77, v1                                // 0000000070A0: D1CB002D 04049B2D
	v_fma_f32 v46, v46, s77, v1                                // 0000000070A8: D1CB002E 04049B2E
	v_fma_f32 v47, v47, s77, v1                                // 0000000070B0: D1CB002F 04049B2F
	v_mul_f32_e32 v44, v44, v108                               // 0000000070B8: 0A58D92C
	v_mul_f32_e32 v45, v45, v109                               // 0000000070BC: 0A5ADB2D
	v_mul_f32_e32 v46, v46, v110                               // 0000000070C0: 0A5CDD2E
	v_mul_f32_e32 v47, v47, v111                               // 0000000070C4: 0A5EDF2F
	v_mul_f32_e64 v44, v44, s6                                 // 0000000070C8: D105002C 00000D2C
	v_mul_f32_e64 v45, v45, s6                                 // 0000000070D0: D105002D 00000D2D
	v_mul_f32_e64 v46, v46, s6                                 // 0000000070D8: D105002E 00000D2E
	v_mul_f32_e64 v47, v47, s6                                 // 0000000070E0: D105002F 00000D2F
	v_exp_f32_e32 v44, v44                                     // 0000000070E8: 7E58412C
	v_exp_f32_e32 v45, v45                                     // 0000000070EC: 7E5A412D
	v_exp_f32_e32 v46, v46                                     // 0000000070F0: 7E5C412E
	v_exp_f32_e32 v47, v47                                     // 0000000070F4: 7E5E412F
	buffer_load_dwordx4 a[28:31], v39, s[12:15], 0 offen offset:1024// 0000000070F8: E05C1400 80831C27
	v_add_f32_e64 v44, v44, 1.0                                // 000000007100: D101002C 0001E52C
	v_add_f32_e64 v45, v45, 1.0                                // 000000007108: D101002D 0001E52D
	v_add_f32_e64 v46, v46, 1.0                                // 000000007110: D101002E 0001E52E
	v_add_f32_e64 v47, v47, 1.0                                // 000000007118: D101002F 0001E52F
	v_rcp_f32_e32 v44, v44                                     // 000000007120: 7E58452C
	v_rcp_f32_e32 v45, v45                                     // 000000007124: 7E5A452D
	v_rcp_f32_e32 v46, v46                                     // 000000007128: 7E5C452E
	v_rcp_f32_e32 v47, v47                                     // 00000000712C: 7E5E452F
	v_mul_f32_e32 v108, v108, v44                              // 000000007130: 0AD8596C
	v_mul_f32_e32 v109, v109, v45                              // 000000007134: 0ADA5B6D
	v_mul_f32_e32 v110, v110, v46                              // 000000007138: 0ADC5D6E
	v_mul_f32_e32 v111, v111, v47                              // 00000000713C: 0ADE5F6F
	v_mul_f32_e32 v108, v108, v76                              // 000000007140: 0AD8996C
	v_mul_f32_e32 v109, v109, v77                              // 000000007144: 0ADA9B6D
	v_mul_f32_e32 v110, v110, v78                              // 000000007148: 0ADC9D6E
	v_mul_f32_e32 v111, v111, v79                              // 00000000714C: 0ADE9F6F
	v_lshlrev_b32_e32 v44, 2, v0                               // 000000007150: 24580082
	s_mul_i32 s60, s82, s71                                    // 000000007154: 923C4752
	v_add_u32_e64 v80, v44, s60                                // 000000007158: D1340050 0000792C
	v_mov_b32_e32 v81, 0                                       // 000000007160: 7EA20280
	s_mul_i32 s60, s83, s71                                    // 000000007164: 923C4753
	v_add_u32_e64 v82, v44, s60                                // 000000007168: D1340052 0000792C
	v_mov_b32_e32 v83, 0                                       // 000000007170: 7EA60280
	s_mul_i32 s60, s84, s71                                    // 000000007174: 923C4754
	v_add_u32_e64 v84, v44, s60                                // 000000007178: D1340054 0000792C
	v_mov_b32_e32 v85, 0                                       // 000000007180: 7EAA0280
	s_mul_i32 s60, s85, s71                                    // 000000007184: 923C4755
	v_add_u32_e64 v86, v44, s60                                // 000000007188: D1340056 0000792C
	v_mov_b32_e32 v87, 0                                       // 000000007190: 7EAE0280
	s_mul_i32 s60, s86, s71                                    // 000000007194: 923C4756
	v_add_u32_e64 v88, v44, s60                                // 000000007198: D1340058 0000792C
	v_mov_b32_e32 v89, 0                                       // 0000000071A0: 7EB20280
	s_mul_i32 s60, s87, s71                                    // 0000000071A4: 923C4757
	v_add_u32_e64 v90, v44, s60                                // 0000000071A8: D134005A 0000792C
	v_mov_b32_e32 v91, 0                                       // 0000000071B0: 7EB60280
	s_mul_i32 s60, s88, s71                                    // 0000000071B4: 923C4758
	v_add_u32_e64 v92, v44, s60                                // 0000000071B8: D134005C 0000792C
	v_mov_b32_e32 v93, 0                                       // 0000000071C0: 7EBA0280
	s_mul_i32 s60, s89, s71                                    // 0000000071C4: 923C4759
	v_add_u32_e64 v94, v44, s60                                // 0000000071C8: D134005E 0000792C
	v_mov_b32_e32 v95, 0                                       // 0000000071D0: 7EBE0280
	buffer_load_dword v23, v6, s[16:19], 0 offen               // 0000000071D4: E0501000 80041706
	v_mov_b32_e32 v28, 0x358637bd                              // 0000000071DC: 7E3802FF 358637BD
	v_mov_b32_e32 v29, 0x358637bd                              // 0000000071E4: 7E3A02FF 358637BD
	v_max3_f32 v28, |v96|, |v97|, v28                          // 0000000071EC: D1D3031C 0472C360
	v_max3_f32 v28, |v98|, |v99|, v28                          // 0000000071F4: D1D3031C 0472C762
	v_max3_f32 v29, |v100|, |v101|, v29                        // 0000000071FC: D1D3031D 0476CB64
	v_max3_f32 v29, |v102|, |v103|, v29                        // 000000007204: D1D3031D 0476CF66
	v_max3_f32 v28, |v104|, |v105|, v28                        // 00000000720C: D1D3031C 0472D368
	v_max3_f32 v28, |v106|, |v107|, v28                        // 000000007214: D1D3031C 0472D76A
	v_max3_f32 v29, |v108|, |v109|, v29                        // 00000000721C: D1D3031D 0476DB6C
	v_max3_f32 v29, |v110|, |v111|, v29                        // 000000007224: D1D3031D 0476DF6E
	v_mov_b32_e32 v44, v28                                     // 00000000722C: 7E58031C
	s_nop 1                                                    // 000000007230: BF800001
	v_permlane32_swap_b32_e32 v44, v28                         // 000000007234: 7E58B51C
	v_max_f32_e32 v28, v44, v28                                // 000000007238: 1638392C
	v_mov_b32_e32 v44, v28                                     // 00000000723C: 7E58031C
	s_nop 1                                                    // 000000007240: BF800001
	v_permlane16_swap_b32_e32 v44, v28                         // 000000007244: 7E58B31C
	v_max_f32_e32 v28, v44, v28                                // 000000007248: 1638392C
	v_mov_b32_e32 v44, v29                                     // 00000000724C: 7E58031D
	s_nop 1                                                    // 000000007250: BF800001
	v_permlane32_swap_b32_e32 v44, v29                         // 000000007254: 7E58B51D
	v_max_f32_e32 v29, v44, v29                                // 000000007258: 163A3B2C
	v_mov_b32_e32 v44, v29                                     // 00000000725C: 7E58031D
	s_nop 1                                                    // 000000007260: BF800001
	v_permlane16_swap_b32_e32 v44, v29                         // 000000007264: 7E58B31D
	v_max_f32_e32 v29, v44, v29                                // 000000007268: 163A3B2C
	v_lshlrev_b32_e32 v44, 2, v0                               // 00000000726C: 24580082
	s_mul_i32 s60, 64, s7                                      // 000000007270: 923C07C0
	v_add_u32_e32 v44, s60, v44                                // 000000007274: 6858583C
	s_mov_b32 s60, 0xffff                                      // 000000007278: BEBC00FF 0000FFFF
	s_mov_b32 s61, 0                                           // 000000007280: BEBD0080
	s_mov_b64 exec, s[60:61]                                   // 000000007284: BEFE013C
	ds_write_b32 v44, v28 offset:18944                         // 000000007288: D81A4A00 00001C2C
	ds_write_b32 v44, v29 offset:19200                         // 000000007290: D81A4B00 00001D2C
	s_mov_b32 s60, -1                                          // 000000007298: BEBC00C1
	s_mov_b32 s61, -1                                          // 00000000729C: BEBD00C1
	s_mov_b64 exec, s[60:61]                                   // 0000000072A0: BEFE013C
	s_waitcnt lgkmcnt(0)                                       // 0000000072A4: BF8CC07F
	s_barrier                                                  // 0000000072A8: BF8A0000
	v_lshlrev_b32_e32 v44, 2, v0                               // 0000000072AC: 24580082
	ds_read_b32 v112, v44 offset:18944                         // 0000000072B0: D86C4A00 7000002C
	ds_read_b32 v113, v44 offset:19200                         // 0000000072B8: D86C4B00 7100002C
	s_waitcnt lgkmcnt(0)                                       // 0000000072C0: BF8CC07F
	v_mov_b32_e32 v44, v112                                    // 0000000072C4: 7E580370
	s_nop 1                                                    // 0000000072C8: BF800001
	v_permlane32_swap_b32_e32 v44, v112                        // 0000000072CC: 7E58B570
	v_max_f32_e32 v112, v44, v112                              // 0000000072D0: 16E0E12C
	v_mov_b32_e32 v44, v112                                    // 0000000072D4: 7E580370
	s_nop 1                                                    // 0000000072D8: BF800001
	v_permlane16_swap_b32_e32 v44, v112                        // 0000000072DC: 7E58B370
	v_max_f32_e32 v112, v44, v112                              // 0000000072E0: 16E0E12C
	v_mov_b32_e32 v44, v113                                    // 0000000072E4: 7E580371
	s_nop 1                                                    // 0000000072E8: BF800001
	v_permlane32_swap_b32_e32 v44, v113                        // 0000000072EC: 7E58B571
	v_max_f32_e32 v113, v44, v113                              // 0000000072F0: 16E2E32C
	v_mov_b32_e32 v44, v113                                    // 0000000072F4: 7E580371
	s_nop 1                                                    // 0000000072F8: BF800001
	v_permlane16_swap_b32_e32 v44, v113                        // 0000000072FC: 7E58B371
	v_max_f32_e32 v113, v44, v113                              // 000000007300: 16E2E32C
	v_max_f32_e32 v28, v112, v28                               // 000000007304: 16383970
	v_max_f32_e32 v29, v113, v29                               // 000000007308: 163A3B71
	v_rcp_f32_e32 v28, v28                                     // 00000000730C: 7E38451C
	v_rcp_f32_e32 v29, v29                                     // 000000007310: 7E3A451D
	v_mov_b32_e32 v44, 0x43e00000                              // 000000007314: 7E5802FF 43E00000
	v_mul_f32_e32 v28, v44, v28                                // 00000000731C: 0A38392C
	v_mul_f32_e32 v29, v44, v29                                // 000000007320: 0A3A3B2C
	v_mul_f32_e32 v96, v28, v96                                // 000000007324: 0AC0C11C
	v_mul_f32_e32 v97, v28, v97                                // 000000007328: 0AC2C31C
	v_mul_f32_e32 v98, v28, v98                                // 00000000732C: 0AC4C51C
	v_mul_f32_e32 v99, v28, v99                                // 000000007330: 0AC6C71C
	v_cvt_pk_fp8_f32 v96, v96, v97                             // 000000007334: D2A20060 0002C360
	v_cvt_pk_fp8_f32 v96, v98, v99 op_sel:[0,0,1]              // 00000000733C: D2A24060 0002C762
	v_mul_f32_e32 v100, v29, v100                              // 000000007344: 0AC8C91D
	v_mul_f32_e32 v101, v29, v101                              // 000000007348: 0ACACB1D
	v_mul_f32_e32 v102, v29, v102                              // 00000000734C: 0ACCCD1D
	v_mul_f32_e32 v103, v29, v103                              // 000000007350: 0ACECF1D
	v_cvt_pk_fp8_f32 v97, v100, v101                           // 000000007354: D2A20061 0002CB64
	v_cvt_pk_fp8_f32 v97, v102, v103 op_sel:[0,0,1]            // 00000000735C: D2A24061 0002CF66
	v_mul_f32_e32 v104, v28, v104                              // 000000007364: 0AD0D11C
	v_mul_f32_e32 v105, v28, v105                              // 000000007368: 0AD2D31C
	v_mul_f32_e32 v106, v28, v106                              // 00000000736C: 0AD4D51C
	v_mul_f32_e32 v107, v28, v107                              // 000000007370: 0AD6D71C
	v_cvt_pk_fp8_f32 v98, v104, v105                           // 000000007374: D2A20062 0002D368
	v_cvt_pk_fp8_f32 v98, v106, v107 op_sel:[0,0,1]            // 00000000737C: D2A24062 0002D76A
	v_mul_f32_e32 v108, v29, v108                              // 000000007384: 0AD8D91D
	v_mul_f32_e32 v109, v29, v109                              // 000000007388: 0ADADB1D
	v_mul_f32_e32 v110, v29, v110                              // 00000000738C: 0ADCDD1D
	v_mul_f32_e32 v111, v29, v111                              // 000000007390: 0ADEDF1D
	v_cvt_pk_fp8_f32 v99, v108, v109                           // 000000007394: D2A20063 0002DB6C
	v_cvt_pk_fp8_f32 v99, v110, v111 op_sel:[0,0,1]            // 00000000739C: D2A24063 0002DF6E
	v_rcp_f32_e32 v30, v28                                     // 0000000073A4: 7E3C451C
	v_rcp_f32_e32 v31, v29                                     // 0000000073A8: 7E3E451D
	v_lshrrev_b32_e32 v44, 5, v0                               // 0000000073AC: 20580085
	v_lshlrev_b32_e32 v45, 6, v44                              // 0000000073B0: 245A5886
	v_and_b32_e32 v44, 31, v0                                  // 0000000073B4: 2658009F
	v_lshrrev_b32_e32 v46, 4, v44                              // 0000000073B8: 205C5884
	v_add_u32_e32 v45, v46, v45                                // 0000000073BC: 685A5B2E
	v_and_b32_e32 v44, 15, v0                                  // 0000000073C0: 2658008F
	v_lshlrev_b32_e32 v44, 1, v44                              // 0000000073C4: 24585881
	v_add_u32_e32 v45, v44, v45                                // 0000000073C8: 685A5B2C
	v_lshlrev_b32_e32 v44, 2, v45                              // 0000000073CC: 24585A82
	s_mov_b32 s60, 0                                           // 0000000073D0: BEBC0080
	s_lshr_b32 s61, s7, 1                                      // 0000000073D4: 8F3D8107
	s_mul_i32 s61, s61, 0x200                                  // 0000000073D8: 923DFF3D 00000200
	s_add_u32 s60, s61, s60                                    // 0000000073E0: 803C3C3D
	s_and_b32 s61, s7, 1                                       // 0000000073E4: 863D8107
	s_mul_i32 s61, s61, 0x80                                   // 0000000073E8: 923DFF3D 00000080
	s_add_u32 s60, s61, s60                                    // 0000000073F0: 803C3C3D
	v_add_u32_e64 v44, v44, s60                                // 0000000073F4: D134002C 0000792C
	ds_write_b32 v44, v96 offset:20992                         // 0000000073FC: D81A5200 0000602C
	ds_write_b32 v44, v97 offset:23040                         // 000000007404: D81A5A00 0000612C
	ds_write_b32 v44, v98 offset:22016                         // 00000000740C: D81A5600 0000622C
	ds_write_b32 v44, v99 offset:24064                         // 000000007414: D81A5E00 0000632C
	s_waitcnt lgkmcnt(0)                                       // 00000000741C: BF8CC07F
	s_barrier                                                  // 000000007420: BF8A0000
	v_and_b32_e32 v44, 31, v0                                  // 000000007424: 2658009F
	v_lshrrev_b32_e32 v44, 4, v44                              // 000000007428: 20585884
	v_lshlrev_b32_e32 v45, 5, v44                              // 00000000742C: 245A5885
	v_lshrrev_b32_e32 v44, 5, v0                               // 000000007430: 20580085
	v_lshlrev_b32_e32 v44, 7, v44                              // 000000007434: 24585887
	v_add_u32_e32 v45, v44, v45                                // 000000007438: 685A5B2C
	v_and_b32_e32 v44, 15, v0                                  // 00000000743C: 2658008F
	v_lshlrev_b32_e32 v44, 1, v44                              // 000000007440: 24585881
	v_add_u32_e32 v45, v44, v45                                // 000000007444: 685A5B2C
	v_lshlrev_b32_e32 v44, 2, v45                              // 000000007448: 24585A82
	ds_read_b64 v[96:97], v44 offset:20992                     // 00000000744C: D8EC5200 6000002C
	ds_read_b64 v[98:99], v44 offset:21248                     // 000000007454: D8EC5300 6200002C
	ds_read_b64 v[100:101], v44 offset:22016                   // 00000000745C: D8EC5600 6400002C
	ds_read_b64 v[102:103], v44 offset:22272                   // 000000007464: D8EC5700 6600002C
	ds_read_b64 v[104:105], v44 offset:23040                   // 00000000746C: D8EC5A00 6800002C
	ds_read_b64 v[106:107], v44 offset:23296                   // 000000007474: D8EC5B00 6A00002C
	ds_read_b64 v[108:109], v44 offset:24064                   // 00000000747C: D8EC5E00 6C00002C
	ds_read_b64 v[110:111], v44 offset:24320                   // 000000007484: D8EC5F00 6E00002C
	s_add_u32 s12, s56, s12                                    // 00000000748C: 800C0C38
	s_addc_u32 s13, 0, s13                                     // 000000007490: 820D0D80
	s_add_u32 s16, s79, s16                                    // 000000007494: 8010104F
	s_addc_u32 s17, 0, s17                                     // 000000007498: 82111180
	s_waitcnt lgkmcnt(0)                                       // 00000000749C: BF8CC07F
	s_barrier                                                  // 0000000074A0: BF8A0000
	v_mov_b32_e32 v128, 0                                      // 0000000074A4: 7F000280
	v_mov_b32_e32 v160, 0                                      // 0000000074A8: 7F400280
	v_mov_b32_e32 v129, 0                                      // 0000000074AC: 7F020280
	v_mov_b32_e32 v161, 0                                      // 0000000074B0: 7F420280
	v_mov_b32_e32 v130, 0                                      // 0000000074B4: 7F040280
	v_mov_b32_e32 v162, 0                                      // 0000000074B8: 7F440280
	v_mov_b32_e32 v131, 0                                      // 0000000074BC: 7F060280
	v_mov_b32_e32 v163, 0                                      // 0000000074C0: 7F460280
	v_mov_b32_e32 v132, 0                                      // 0000000074C4: 7F080280
	v_mov_b32_e32 v164, 0                                      // 0000000074C8: 7F480280
	v_mov_b32_e32 v133, 0                                      // 0000000074CC: 7F0A0280
	v_mov_b32_e32 v165, 0                                      // 0000000074D0: 7F4A0280
	v_mov_b32_e32 v134, 0                                      // 0000000074D4: 7F0C0280
	v_mov_b32_e32 v166, 0                                      // 0000000074D8: 7F4C0280
	v_mov_b32_e32 v135, 0                                      // 0000000074DC: 7F0E0280
	v_mov_b32_e32 v167, 0                                      // 0000000074E0: 7F4E0280
	v_mov_b32_e32 v136, 0                                      // 0000000074E4: 7F100280
	v_mov_b32_e32 v168, 0                                      // 0000000074E8: 7F500280
	v_mov_b32_e32 v137, 0                                      // 0000000074EC: 7F120280
	v_mov_b32_e32 v169, 0                                      // 0000000074F0: 7F520280
	v_mov_b32_e32 v138, 0                                      // 0000000074F4: 7F140280
	v_mov_b32_e32 v170, 0                                      // 0000000074F8: 7F540280
	v_mov_b32_e32 v139, 0                                      // 0000000074FC: 7F160280
	v_mov_b32_e32 v171, 0                                      // 000000007500: 7F560280
	v_mov_b32_e32 v140, 0                                      // 000000007504: 7F180280
	v_mov_b32_e32 v172, 0                                      // 000000007508: 7F580280
	v_mov_b32_e32 v141, 0                                      // 00000000750C: 7F1A0280
	v_mov_b32_e32 v173, 0                                      // 000000007510: 7F5A0280
	v_mov_b32_e32 v142, 0                                      // 000000007514: 7F1C0280
	v_mov_b32_e32 v174, 0                                      // 000000007518: 7F5C0280
	v_mov_b32_e32 v143, 0                                      // 00000000751C: 7F1E0280
	v_mov_b32_e32 v175, 0                                      // 000000007520: 7F5E0280
	ds_write_b64 v4, v[128:129] offset:20992                   // 000000007524: D89A5200 00008004
	ds_write_b64 v4, v[130:131] offset:29696                   // 00000000752C: D89A7400 00008204
	ds_write_b64 v4, v[132:133] offset:23168                   // 000000007534: D89A5A80 00008404
	ds_write_b64 v4, v[134:135] offset:31872                   // 00000000753C: D89A7C80 00008604
	ds_write_b64 v4, v[136:137] offset:25344                   // 000000007544: D89A6300 00008804
	ds_write_b64 v4, v[138:139] offset:34048                   // 00000000754C: D89A8500 00008A04
	ds_write_b64 v4, v[140:141] offset:27520                   // 000000007554: D89A6B80 00008C04
	ds_write_b64 v4, v[142:143] offset:36224                   // 00000000755C: D89A8D80 00008E04
	s_mov_b32 s80, 0                                           // 000000007564: BED00080
	s_waitcnt vmcnt(0) expcnt(0) lgkmcnt(0)                    // 000000007568: BF8C0000

000000000000756c <label_11DB>:
	s_waitcnt vmcnt(4) lgkmcnt(0)                              // 00000000756C: BF8C0074
	s_barrier                                                  // 000000007570: BF8A0000
	v_mfma_f32_16x16x128_f8f6f4 v[128:131], a[0:7], v[96:103], 0// 000000007574: D3AD0080 0A02C100
	buffer_load_dwordx4 a[32:35], v36, s[12:15], 0 offen       // 00000000757C: E05C1000 80832024
	buffer_load_dwordx4 a[36:39], v36, s[12:15], 0 offen offset:1024// 000000007584: E05C1400 80832424
	v_mfma_f32_16x16x128_f8f6f4 v[132:135], a[0:7], v[104:111], 0// 00000000758C: D3AD0084 0A02D100
	ds_read_b32 v64, v5 offset:20992                           // 000000007594: D86C5200 40000005
	ds_read_b32 v65, v5 offset:25344                           // 00000000759C: D86C6300 41000005
	ds_read_b32 v66, v5 offset:21000                           // 0000000075A4: D86C5208 42000005
	ds_read_b32 v67, v5 offset:25352                           // 0000000075AC: D86C6308 43000005
	v_mfma_f32_16x16x128_f8f6f4 v[136:139], a[8:15], v[96:103], 0// 0000000075B4: D3AD0088 0A02C108
	buffer_load_dwordx4 a[40:43], v37, s[12:15], 0 offen       // 0000000075BC: E05C1000 80832825
	buffer_load_dwordx4 a[44:47], v37, s[12:15], 0 offen offset:1024// 0000000075C4: E05C1400 80832C25
	buffer_load_dword v24, v6, s[16:19], 0 offen               // 0000000075CC: E0501000 80041806
	v_mfma_f32_16x16x128_f8f6f4 v[140:143], a[8:15], v[104:111], 0// 0000000075D4: D3AD008C 0A02D108
	ds_read_b32 v68, v5 offset:21024                           // 0000000075DC: D86C5220 44000005
	ds_read_b32 v69, v5 offset:25376                           // 0000000075E4: D86C6320 45000005
	ds_read_b32 v70, v5 offset:21032                           // 0000000075EC: D86C5228 46000005
	ds_read_b32 v71, v5 offset:25384                           // 0000000075F4: D86C6328 47000005
	s_waitcnt vmcnt(5)                                         // 0000000075FC: BF8C0F75
	v_mfma_f32_16x16x128_f8f6f4 v[144:147], a[16:23], v[96:103], 0// 000000007600: D3AD0090 0A02C110
	buffer_load_dwordx4 a[48:51], v38, s[12:15], 0 offen       // 000000007608: E05C1000 80833026
	buffer_load_dwordx4 a[52:55], v38, s[12:15], 0 offen offset:1024// 000000007610: E05C1400 80833426
	v_mfma_f32_16x16x128_f8f6f4 v[148:151], a[16:23], v[104:111], 0// 000000007618: D3AD0094 0A02D110
	ds_read_b32 v72, v5 offset:29696                           // 000000007620: D86C7400 48000005
	ds_read_b32 v73, v5 offset:34048                           // 000000007628: D86C8500 49000005
	ds_read_b32 v74, v5 offset:29704                           // 000000007630: D86C7408 4A000005
	ds_read_b32 v75, v5 offset:34056                           // 000000007638: D86C8508 4B000005
	ds_write_b64 v4, v[160:161] offset:38400                   // 000000007640: D89A9600 0000A004
	ds_write_b64 v4, v[162:163] offset:47104                   // 000000007648: D89AB800 0000A204
	ds_write_b64 v4, v[164:165] offset:40576                   // 000000007650: D89A9E80 0000A404
	ds_write_b64 v4, v[166:167] offset:49280                   // 000000007658: D89AC080 0000A604
	v_mfma_f32_16x16x128_f8f6f4 v[152:155], a[24:31], v[96:103], 0// 000000007660: D3AD0098 0A02C118
	buffer_load_dwordx4 a[56:59], v39, s[12:15], 0 offen       // 000000007668: E05C1000 80833827
	buffer_load_dwordx4 a[60:63], v39, s[12:15], 0 offen offset:1024// 000000007670: E05C1400 80833C27
	v_mfma_f32_16x16x128_f8f6f4 v[156:159], a[24:31], v[104:111], 0// 000000007678: D3AD009C 0A02D118
	ds_read_b32 v76, v5 offset:29728                           // 000000007680: D86C7420 4C000005
	ds_read_b32 v77, v5 offset:34080                           // 000000007688: D86C8520 4D000005
	ds_read_b32 v78, v5 offset:29736                           // 000000007690: D86C7428 4E000005
	ds_read_b32 v79, v5 offset:34088                           // 000000007698: D86C8528 4F000005
	ds_write_b64 v4, v[168:169] offset:42752                   // 0000000076A0: D89AA700 0000A804
	ds_write_b64 v4, v[170:171] offset:51456                   // 0000000076A8: D89AC900 0000AA04
	ds_write_b64 v4, v[172:173] offset:44928                   // 0000000076B0: D89AAF80 0000AC04
	ds_write_b64 v4, v[174:175] offset:53632                   // 0000000076B8: D89AD180 0000AE04
	v_mul_f32_dpp v44, v23, v30 row_newbcast:0 row_mask:0xf bank_mask:0xf// 0000000076C0: 0A583CFA FF015017
	v_mov_b32_e32 v45, v44                                     // 0000000076C8: 7E5A032C
	v_pk_mul_f32 v[128:129], v[44:45], v[128:129]              // 0000000076CC: D3B14080 1803012C
	v_pk_mul_f32 v[130:131], v[44:45], v[130:131]              // 0000000076D4: D3B14082 1803052C
	v_pk_mul_f32 v[136:137], v[44:45], v[136:137]              // 0000000076DC: D3B14088 1803112C
	v_pk_mul_f32 v[138:139], v[44:45], v[138:139]              // 0000000076E4: D3B1408A 1803152C
	v_mul_f32_dpp v44, v23, v30 row_newbcast:1 row_mask:0xf bank_mask:0xf// 0000000076EC: 0A583CFA FF015117
	v_mov_b32_e32 v45, v44                                     // 0000000076F4: 7E5A032C
	v_pk_mul_f32 v[144:145], v[44:45], v[144:145]              // 0000000076F8: D3B14090 1803212C
	v_pk_mul_f32 v[146:147], v[44:45], v[146:147]              // 000000007700: D3B14092 1803252C
	v_pk_mul_f32 v[152:153], v[44:45], v[152:153]              // 000000007708: D3B14098 1803312C
	v_pk_mul_f32 v[154:155], v[44:45], v[154:155]              // 000000007710: D3B1409A 1803352C
	v_mul_f32_dpp v44, v23, v31 row_newbcast:0 row_mask:0xf bank_mask:0xf// 000000007718: 0A583EFA FF015017
	v_mov_b32_e32 v45, v44                                     // 000000007720: 7E5A032C
	v_pk_mul_f32 v[132:133], v[44:45], v[132:133]              // 000000007724: D3B14084 1803092C
	v_pk_mul_f32 v[134:135], v[44:45], v[134:135]              // 00000000772C: D3B14086 18030D2C
	v_pk_mul_f32 v[140:141], v[44:45], v[140:141]              // 000000007734: D3B1408C 1803192C
	v_pk_mul_f32 v[142:143], v[44:45], v[142:143]              // 00000000773C: D3B1408E 18031D2C
	v_mul_f32_dpp v44, v23, v31 row_newbcast:1 row_mask:0xf bank_mask:0xf// 000000007744: 0A583EFA FF015117
	v_mov_b32_e32 v45, v44                                     // 00000000774C: 7E5A032C
	v_pk_mul_f32 v[148:149], v[44:45], v[148:149]              // 000000007750: D3B14094 1803292C
	v_pk_mul_f32 v[150:151], v[44:45], v[150:151]              // 000000007758: D3B14096 18032D2C
	v_pk_mul_f32 v[156:157], v[44:45], v[156:157]              // 000000007760: D3B1409C 1803392C
	v_pk_mul_f32 v[158:159], v[44:45], v[158:159]              // 000000007768: D3B1409E 18033D2C
	s_add_u32 s60, 0x200, s80                                  // 000000007770: 803C50FF 00000200
	s_cmp_lt_u32 s60, s81                                      // 000000007778: BF0A513C
	s_cselect_b32 s56, s56, 0                                  // 00000000777C: 85388038
	s_cselect_b32 s78, s78, 0                                  // 000000007780: 854E804E
	s_cselect_b32 s79, s79, 0                                  // 000000007784: 854F804F
	s_add_u32 s12, s56, s12                                    // 000000007788: 800C0C38
	s_addc_u32 s13, 0, s13                                     // 00000000778C: 820D0D80
	s_add_u32 s16, s79, s16                                    // 000000007790: 8010104F
	s_addc_u32 s17, 0, s17                                     // 000000007794: 82111180
	v_mov_b32_e32 v44, v25                                     // 000000007798: 7E580319
	v_mov_b32_e32 v45, v25                                     // 00000000779C: 7E5A0319
	v_pk_mul_f32 v[128:129], v[44:45], v[128:129]              // 0000000077A0: D3B14080 1803012C
	v_pk_mul_f32 v[130:131], v[44:45], v[130:131]              // 0000000077A8: D3B14082 1803052C
	v_pk_mul_f32 v[136:137], v[44:45], v[136:137]              // 0000000077B0: D3B14088 1803112C
	v_pk_mul_f32 v[138:139], v[44:45], v[138:139]              // 0000000077B8: D3B1408A 1803152C
	v_pk_mul_f32 v[144:145], v[44:45], v[144:145]              // 0000000077C0: D3B14090 1803212C
	v_pk_mul_f32 v[146:147], v[44:45], v[146:147]              // 0000000077C8: D3B14092 1803252C
	v_pk_mul_f32 v[152:153], v[44:45], v[152:153]              // 0000000077D0: D3B14098 1803312C
	v_pk_mul_f32 v[154:155], v[44:45], v[154:155]              // 0000000077D8: D3B1409A 1803352C
	v_mov_b32_e32 v44, v26                                     // 0000000077E0: 7E58031A
	v_mov_b32_e32 v45, v26                                     // 0000000077E4: 7E5A031A
	v_pk_mul_f32 v[132:133], v[44:45], v[132:133]              // 0000000077E8: D3B14084 1803092C
	v_pk_mul_f32 v[134:135], v[44:45], v[134:135]              // 0000000077F0: D3B14086 18030D2C
	v_pk_mul_f32 v[140:141], v[44:45], v[140:141]              // 0000000077F8: D3B1408C 1803192C
	v_pk_mul_f32 v[142:143], v[44:45], v[142:143]              // 000000007800: D3B1408E 18031D2C
	v_pk_mul_f32 v[148:149], v[44:45], v[148:149]              // 000000007808: D3B14094 1803292C
	v_pk_mul_f32 v[150:151], v[44:45], v[150:151]              // 000000007810: D3B14096 18032D2C
	v_pk_mul_f32 v[156:157], v[44:45], v[156:157]              // 000000007818: D3B1409C 1803392C
	v_pk_mul_f32 v[158:159], v[44:45], v[158:159]              // 000000007820: D3B1409E 18033D2C
	v_cvt_pk_bf16_f32 v128, v128, v129                         // 000000007828: D2680080 00030380
	v_cvt_pk_bf16_f32 v129, v130, v131                         // 000000007830: D2680081 00030782
	v_cvt_pk_bf16_f32 v130, v132, v133                         // 000000007838: D2680082 00030B84
	v_cvt_pk_bf16_f32 v131, v134, v135                         // 000000007840: D2680083 00030F86
	v_cvt_pk_bf16_f32 v132, v136, v137                         // 000000007848: D2680084 00031388
	v_cvt_pk_bf16_f32 v133, v138, v139                         // 000000007850: D2680085 0003178A
	v_cvt_pk_bf16_f32 v134, v140, v141                         // 000000007858: D2680086 00031B8C
	v_cvt_pk_bf16_f32 v135, v142, v143                         // 000000007860: D2680087 00031F8E
	v_cvt_pk_bf16_f32 v136, v144, v145                         // 000000007868: D2680088 00032390
	v_cvt_pk_bf16_f32 v137, v146, v147                         // 000000007870: D2680089 00032792
	v_cvt_pk_bf16_f32 v138, v148, v149                         // 000000007878: D268008A 00032B94
	v_cvt_pk_bf16_f32 v139, v150, v151                         // 000000007880: D268008B 00032F96
	v_cvt_pk_bf16_f32 v140, v152, v153                         // 000000007888: D268008C 00033398
	v_cvt_pk_bf16_f32 v141, v154, v155                         // 000000007890: D268008D 0003379A
	v_cvt_pk_bf16_f32 v142, v156, v157                         // 000000007898: D268008E 00033B9C
	v_cvt_pk_bf16_f32 v143, v158, v159                         // 0000000078A0: D268008F 00033F9E
	s_cmp_ge_u32 s80, 0x200                                    // 0000000078A8: BF09FF50 00000200
	s_cselect_b32 s59, 0x200, s59                              // 0000000078B0: 853B3BFF 00000200
	s_setvskip s20, 0                                          // 0000000078B8: BF108014
	global_atomic_pk_add_bf16 v80, v64, s[8:9]                 // 0000000078BC: DD488000 00084050
	s_setvskip 0, 0                                            // 0000000078C4: BF108080
	s_setvskip s20, 0                                          // 0000000078C8: BF108014
	global_atomic_pk_add_bf16 v80, v65, s[8:9] offset:256      // 0000000078CC: DD488100 00084150
	s_setvskip 0, 0                                            // 0000000078D4: BF108080
	s_setvskip s20, 1                                          // 0000000078D8: BF108114
	global_atomic_pk_add_bf16 v82, v66, s[8:9]                 // 0000000078DC: DD488000 00084252
	s_setvskip 0, 0                                            // 0000000078E4: BF108080
	s_setvskip s20, 1                                          // 0000000078E8: BF108114
	global_atomic_pk_add_bf16 v82, v67, s[8:9] offset:256      // 0000000078EC: DD488100 00084352
	s_setvskip 0, 0                                            // 0000000078F4: BF108080
	s_setvskip s20, 2                                          // 0000000078F8: BF108214
	global_atomic_pk_add_bf16 v84, v68, s[8:9]                 // 0000000078FC: DD488000 00084454
	s_setvskip 0, 0                                            // 000000007904: BF108080
	s_setvskip s20, 2                                          // 000000007908: BF108214
	global_atomic_pk_add_bf16 v84, v69, s[8:9] offset:256      // 00000000790C: DD488100 00084554
	s_setvskip 0, 0                                            // 000000007914: BF108080
	s_setvskip s20, 3                                          // 000000007918: BF108314
	global_atomic_pk_add_bf16 v86, v70, s[8:9]                 // 00000000791C: DD488000 00084656
	s_setvskip 0, 0                                            // 000000007924: BF108080
	s_setvskip s20, 3                                          // 000000007928: BF108314
	global_atomic_pk_add_bf16 v86, v71, s[8:9] offset:256      // 00000000792C: DD488100 00084756
	s_setvskip 0, 0                                            // 000000007934: BF108080
	s_setvskip s20, 4                                          // 000000007938: BF108414
	global_atomic_pk_add_bf16 v88, v72, s[8:9]                 // 00000000793C: DD488000 00084858
	s_setvskip 0, 0                                            // 000000007944: BF108080
	s_setvskip s20, 4                                          // 000000007948: BF108414
	global_atomic_pk_add_bf16 v88, v73, s[8:9] offset:256      // 00000000794C: DD488100 00084958
	s_setvskip 0, 0                                            // 000000007954: BF108080
	s_setvskip s20, 5                                          // 000000007958: BF108514
	global_atomic_pk_add_bf16 v90, v74, s[8:9]                 // 00000000795C: DD488000 00084A5A
	s_setvskip 0, 0                                            // 000000007964: BF108080
	s_setvskip s20, 5                                          // 000000007968: BF108514
	global_atomic_pk_add_bf16 v90, v75, s[8:9] offset:256      // 00000000796C: DD488100 00084B5A
	s_setvskip 0, 0                                            // 000000007974: BF108080
	s_setvskip s20, 6                                          // 000000007978: BF108614
	global_atomic_pk_add_bf16 v92, v76, s[8:9]                 // 00000000797C: DD488000 00084C5C
	s_setvskip 0, 0                                            // 000000007984: BF108080
	s_setvskip s20, 6                                          // 000000007988: BF108614
	global_atomic_pk_add_bf16 v92, v77, s[8:9] offset:256      // 00000000798C: DD488100 00084D5C
	s_setvskip 0, 0                                            // 000000007994: BF108080
	s_setvskip s20, 7                                          // 000000007998: BF108714
	global_atomic_pk_add_bf16 v94, v78, s[8:9]                 // 00000000799C: DD488000 00084E5E
	s_setvskip 0, 0                                            // 0000000079A4: BF108080
	s_setvskip s20, 7                                          // 0000000079A8: BF108714
	global_atomic_pk_add_bf16 v94, v79, s[8:9] offset:256      // 0000000079AC: DD488100 00084F5E
	s_setvskip 0, 0                                            // 0000000079B4: BF108080
	s_add_u32 s8, s59, s8                                      // 0000000079B8: 8008083B
	s_addc_u32 s9, 0, s9                                       // 0000000079BC: 82090980
	s_addk_i32 s80, 0x100                                      // 0000000079C0: B7500100
	s_cmp_lt_i32 s80, s81                                      // 0000000079C4: BF045150
	s_cbranch_scc0 label_0BF1                                  // 0000000079C8: BF84F8FE
	s_waitcnt vmcnt(4) lgkmcnt(0)                              // 0000000079CC: BF8C0074
	s_barrier                                                  // 0000000079D0: BF8A0000
	v_mfma_f32_16x16x128_f8f6f4 v[160:163], a[32:39], v[96:103], 0// 0000000079D4: D3AD00A0 0A02C120
	buffer_load_dwordx4 a[0:3], v36, s[12:15], 0 offen         // 0000000079DC: E05C1000 80830024
	buffer_load_dwordx4 a[4:7], v36, s[12:15], 0 offen offset:1024// 0000000079E4: E05C1400 80830424
	v_mfma_f32_16x16x128_f8f6f4 v[164:167], a[32:39], v[104:111], 0// 0000000079EC: D3AD00A4 0A02D120
	ds_read_b32 v64, v5 offset:38400                           // 0000000079F4: D86C9600 40000005
	ds_read_b32 v65, v5 offset:42752                           // 0000000079FC: D86CA700 41000005
	ds_read_b32 v66, v5 offset:38408                           // 000000007A04: D86C9608 42000005
	ds_read_b32 v67, v5 offset:42760                           // 000000007A0C: D86CA708 43000005
	v_mfma_f32_16x16x128_f8f6f4 v[168:171], a[40:47], v[96:103], 0// 000000007A14: D3AD00A8 0A02C128
	buffer_load_dwordx4 a[8:11], v37, s[12:15], 0 offen        // 000000007A1C: E05C1000 80830825
	buffer_load_dwordx4 a[12:15], v37, s[12:15], 0 offen offset:1024// 000000007A24: E05C1400 80830C25
	buffer_load_dword v23, v6, s[16:19], 0 offen               // 000000007A2C: E0501000 80041706
	v_mfma_f32_16x16x128_f8f6f4 v[172:175], a[40:47], v[104:111], 0// 000000007A34: D3AD00AC 0A02D128
	ds_read_b32 v68, v5 offset:38432                           // 000000007A3C: D86C9620 44000005
	ds_read_b32 v69, v5 offset:42784                           // 000000007A44: D86CA720 45000005
	ds_read_b32 v70, v5 offset:38440                           // 000000007A4C: D86C9628 46000005
	ds_read_b32 v71, v5 offset:42792                           // 000000007A54: D86CA728 47000005
	s_waitcnt vmcnt(5)                                         // 000000007A5C: BF8C0F75
	v_mfma_f32_16x16x128_f8f6f4 v[176:179], a[48:55], v[96:103], 0// 000000007A60: D3AD00B0 0A02C130
	buffer_load_dwordx4 a[16:19], v38, s[12:15], 0 offen       // 000000007A68: E05C1000 80831026
	buffer_load_dwordx4 a[20:23], v38, s[12:15], 0 offen offset:1024// 000000007A70: E05C1400 80831426
	v_mfma_f32_16x16x128_f8f6f4 v[180:183], a[48:55], v[104:111], 0// 000000007A78: D3AD00B4 0A02D130
	ds_read_b32 v72, v5 offset:47104                           // 000000007A80: D86CB800 48000005
	ds_read_b32 v73, v5 offset:51456                           // 000000007A88: D86CC900 49000005
	ds_read_b32 v74, v5 offset:47112                           // 000000007A90: D86CB808 4A000005
	ds_read_b32 v75, v5 offset:51464                           // 000000007A98: D86CC908 4B000005
	ds_write_b64 v4, v[128:129] offset:20992                   // 000000007AA0: D89A5200 00008004
	ds_write_b64 v4, v[130:131] offset:29696                   // 000000007AA8: D89A7400 00008204
	ds_write_b64 v4, v[132:133] offset:23168                   // 000000007AB0: D89A5A80 00008404
	ds_write_b64 v4, v[134:135] offset:31872                   // 000000007AB8: D89A7C80 00008604
	v_mfma_f32_16x16x128_f8f6f4 v[184:187], a[56:63], v[96:103], 0// 000000007AC0: D3AD00B8 0A02C138
	buffer_load_dwordx4 a[24:27], v39, s[12:15], 0 offen       // 000000007AC8: E05C1000 80831827
	buffer_load_dwordx4 a[28:31], v39, s[12:15], 0 offen offset:1024// 000000007AD0: E05C1400 80831C27
	v_mfma_f32_16x16x128_f8f6f4 v[188:191], a[56:63], v[104:111], 0// 000000007AD8: D3AD00BC 0A02D138
	ds_read_b32 v76, v5 offset:47136                           // 000000007AE0: D86CB820 4C000005
	ds_read_b32 v77, v5 offset:51488                           // 000000007AE8: D86CC920 4D000005
	ds_read_b32 v78, v5 offset:47144                           // 000000007AF0: D86CB828 4E000005
	ds_read_b32 v79, v5 offset:51496                           // 000000007AF8: D86CC928 4F000005
	ds_write_b64 v4, v[136:137] offset:25344                   // 000000007B00: D89A6300 00008804
	ds_write_b64 v4, v[138:139] offset:34048                   // 000000007B08: D89A8500 00008A04
	ds_write_b64 v4, v[140:141] offset:27520                   // 000000007B10: D89A6B80 00008C04
	ds_write_b64 v4, v[142:143] offset:36224                   // 000000007B18: D89A8D80 00008E04
	v_mul_f32_dpp v44, v24, v30 row_newbcast:0 row_mask:0xf bank_mask:0xf// 000000007B20: 0A583CFA FF015018
	v_mov_b32_e32 v45, v44                                     // 000000007B28: 7E5A032C
	v_pk_mul_f32 v[160:161], v[44:45], v[160:161]              // 000000007B2C: D3B140A0 1803412C
	v_pk_mul_f32 v[162:163], v[44:45], v[162:163]              // 000000007B34: D3B140A2 1803452C
	v_pk_mul_f32 v[168:169], v[44:45], v[168:169]              // 000000007B3C: D3B140A8 1803512C
	v_pk_mul_f32 v[170:171], v[44:45], v[170:171]              // 000000007B44: D3B140AA 1803552C
	v_mul_f32_dpp v44, v24, v30 row_newbcast:1 row_mask:0xf bank_mask:0xf// 000000007B4C: 0A583CFA FF015118
	v_mov_b32_e32 v45, v44                                     // 000000007B54: 7E5A032C
	v_pk_mul_f32 v[176:177], v[44:45], v[176:177]              // 000000007B58: D3B140B0 1803612C
	v_pk_mul_f32 v[178:179], v[44:45], v[178:179]              // 000000007B60: D3B140B2 1803652C
	v_pk_mul_f32 v[184:185], v[44:45], v[184:185]              // 000000007B68: D3B140B8 1803712C
	v_pk_mul_f32 v[186:187], v[44:45], v[186:187]              // 000000007B70: D3B140BA 1803752C
	v_mul_f32_dpp v44, v24, v31 row_newbcast:0 row_mask:0xf bank_mask:0xf// 000000007B78: 0A583EFA FF015018
	v_mov_b32_e32 v45, v44                                     // 000000007B80: 7E5A032C
	v_pk_mul_f32 v[164:165], v[44:45], v[164:165]              // 000000007B84: D3B140A4 1803492C
	v_pk_mul_f32 v[166:167], v[44:45], v[166:167]              // 000000007B8C: D3B140A6 18034D2C
	v_pk_mul_f32 v[172:173], v[44:45], v[172:173]              // 000000007B94: D3B140AC 1803592C
	v_pk_mul_f32 v[174:175], v[44:45], v[174:175]              // 000000007B9C: D3B140AE 18035D2C
	v_mul_f32_dpp v44, v24, v31 row_newbcast:1 row_mask:0xf bank_mask:0xf// 000000007BA4: 0A583EFA FF015118
	v_mov_b32_e32 v45, v44                                     // 000000007BAC: 7E5A032C
	v_pk_mul_f32 v[180:181], v[44:45], v[180:181]              // 000000007BB0: D3B140B4 1803692C
	v_pk_mul_f32 v[182:183], v[44:45], v[182:183]              // 000000007BB8: D3B140B6 18036D2C
	v_pk_mul_f32 v[188:189], v[44:45], v[188:189]              // 000000007BC0: D3B140BC 1803792C
	v_pk_mul_f32 v[190:191], v[44:45], v[190:191]              // 000000007BC8: D3B140BE 18037D2C
	s_add_u32 s60, 0x200, s80                                  // 000000007BD0: 803C50FF 00000200
	s_cmp_lt_u32 s60, s81                                      // 000000007BD8: BF0A513C
	s_cselect_b32 s56, s56, 0                                  // 000000007BDC: 85388038
	s_cselect_b32 s78, s78, 0                                  // 000000007BE0: 854E804E
	s_cselect_b32 s79, s79, 0                                  // 000000007BE4: 854F804F
	s_add_u32 s12, s56, s12                                    // 000000007BE8: 800C0C38
	s_addc_u32 s13, 0, s13                                     // 000000007BEC: 820D0D80
	s_add_u32 s16, s79, s16                                    // 000000007BF0: 8010104F
	s_addc_u32 s17, 0, s17                                     // 000000007BF4: 82111180
	v_mov_b32_e32 v44, v25                                     // 000000007BF8: 7E580319
	v_mov_b32_e32 v45, v25                                     // 000000007BFC: 7E5A0319
	v_pk_mul_f32 v[160:161], v[44:45], v[160:161]              // 000000007C00: D3B140A0 1803412C
	v_pk_mul_f32 v[162:163], v[44:45], v[162:163]              // 000000007C08: D3B140A2 1803452C
	v_pk_mul_f32 v[168:169], v[44:45], v[168:169]              // 000000007C10: D3B140A8 1803512C
	v_pk_mul_f32 v[170:171], v[44:45], v[170:171]              // 000000007C18: D3B140AA 1803552C
	v_pk_mul_f32 v[176:177], v[44:45], v[176:177]              // 000000007C20: D3B140B0 1803612C
	v_pk_mul_f32 v[178:179], v[44:45], v[178:179]              // 000000007C28: D3B140B2 1803652C
	v_pk_mul_f32 v[184:185], v[44:45], v[184:185]              // 000000007C30: D3B140B8 1803712C
	v_pk_mul_f32 v[186:187], v[44:45], v[186:187]              // 000000007C38: D3B140BA 1803752C
	v_mov_b32_e32 v44, v26                                     // 000000007C40: 7E58031A
	v_mov_b32_e32 v45, v26                                     // 000000007C44: 7E5A031A
	v_pk_mul_f32 v[164:165], v[44:45], v[164:165]              // 000000007C48: D3B140A4 1803492C
	v_pk_mul_f32 v[166:167], v[44:45], v[166:167]              // 000000007C50: D3B140A6 18034D2C
	v_pk_mul_f32 v[172:173], v[44:45], v[172:173]              // 000000007C58: D3B140AC 1803592C
	v_pk_mul_f32 v[174:175], v[44:45], v[174:175]              // 000000007C60: D3B140AE 18035D2C
	v_pk_mul_f32 v[180:181], v[44:45], v[180:181]              // 000000007C68: D3B140B4 1803692C
	v_pk_mul_f32 v[182:183], v[44:45], v[182:183]              // 000000007C70: D3B140B6 18036D2C
	v_pk_mul_f32 v[188:189], v[44:45], v[188:189]              // 000000007C78: D3B140BC 1803792C
	v_pk_mul_f32 v[190:191], v[44:45], v[190:191]              // 000000007C80: D3B140BE 18037D2C
	v_cvt_pk_bf16_f32 v160, v160, v161                         // 000000007C88: D26800A0 000343A0
	v_cvt_pk_bf16_f32 v161, v162, v163                         // 000000007C90: D26800A1 000347A2
	v_cvt_pk_bf16_f32 v162, v164, v165                         // 000000007C98: D26800A2 00034BA4
	v_cvt_pk_bf16_f32 v163, v166, v167                         // 000000007CA0: D26800A3 00034FA6
	v_cvt_pk_bf16_f32 v164, v168, v169                         // 000000007CA8: D26800A4 000353A8
	v_cvt_pk_bf16_f32 v165, v170, v171                         // 000000007CB0: D26800A5 000357AA
	v_cvt_pk_bf16_f32 v166, v172, v173                         // 000000007CB8: D26800A6 00035BAC
	v_cvt_pk_bf16_f32 v167, v174, v175                         // 000000007CC0: D26800A7 00035FAE
	v_cvt_pk_bf16_f32 v168, v176, v177                         // 000000007CC8: D26800A8 000363B0
	v_cvt_pk_bf16_f32 v169, v178, v179                         // 000000007CD0: D26800A9 000367B2
	v_cvt_pk_bf16_f32 v170, v180, v181                         // 000000007CD8: D26800AA 00036BB4
	v_cvt_pk_bf16_f32 v171, v182, v183                         // 000000007CE0: D26800AB 00036FB6
	v_cvt_pk_bf16_f32 v172, v184, v185                         // 000000007CE8: D26800AC 000373B8
	v_cvt_pk_bf16_f32 v173, v186, v187                         // 000000007CF0: D26800AD 000377BA
	v_cvt_pk_bf16_f32 v174, v188, v189                         // 000000007CF8: D26800AE 00037BBC
	v_cvt_pk_bf16_f32 v175, v190, v191                         // 000000007D00: D26800AF 00037FBE
	s_cmp_ge_u32 s80, 0x200                                    // 000000007D08: BF09FF50 00000200
	s_cselect_b32 s59, 0x200, s59                              // 000000007D10: 853B3BFF 00000200
	s_setvskip s20, 0                                          // 000000007D18: BF108014
	global_atomic_pk_add_bf16 v80, v64, s[8:9]                 // 000000007D1C: DD488000 00084050
	s_setvskip 0, 0                                            // 000000007D24: BF108080
	s_setvskip s20, 0                                          // 000000007D28: BF108014
	global_atomic_pk_add_bf16 v80, v65, s[8:9] offset:256      // 000000007D2C: DD488100 00084150
	s_setvskip 0, 0                                            // 000000007D34: BF108080
	s_setvskip s20, 1                                          // 000000007D38: BF108114
	global_atomic_pk_add_bf16 v82, v66, s[8:9]                 // 000000007D3C: DD488000 00084252
	s_setvskip 0, 0                                            // 000000007D44: BF108080
	s_setvskip s20, 1                                          // 000000007D48: BF108114
	global_atomic_pk_add_bf16 v82, v67, s[8:9] offset:256      // 000000007D4C: DD488100 00084352
	s_setvskip 0, 0                                            // 000000007D54: BF108080
	s_setvskip s20, 2                                          // 000000007D58: BF108214
	global_atomic_pk_add_bf16 v84, v68, s[8:9]                 // 000000007D5C: DD488000 00084454
	s_setvskip 0, 0                                            // 000000007D64: BF108080
	s_setvskip s20, 2                                          // 000000007D68: BF108214
	global_atomic_pk_add_bf16 v84, v69, s[8:9] offset:256      // 000000007D6C: DD488100 00084554
	s_setvskip 0, 0                                            // 000000007D74: BF108080
	s_setvskip s20, 3                                          // 000000007D78: BF108314
	global_atomic_pk_add_bf16 v86, v70, s[8:9]                 // 000000007D7C: DD488000 00084656
	s_setvskip 0, 0                                            // 000000007D84: BF108080
	s_setvskip s20, 3                                          // 000000007D88: BF108314
	global_atomic_pk_add_bf16 v86, v71, s[8:9] offset:256      // 000000007D8C: DD488100 00084756
	s_setvskip 0, 0                                            // 000000007D94: BF108080
	s_setvskip s20, 4                                          // 000000007D98: BF108414
	global_atomic_pk_add_bf16 v88, v72, s[8:9]                 // 000000007D9C: DD488000 00084858
	s_setvskip 0, 0                                            // 000000007DA4: BF108080
	s_setvskip s20, 4                                          // 000000007DA8: BF108414
	global_atomic_pk_add_bf16 v88, v73, s[8:9] offset:256      // 000000007DAC: DD488100 00084958
	s_setvskip 0, 0                                            // 000000007DB4: BF108080
	s_setvskip s20, 5                                          // 000000007DB8: BF108514
	global_atomic_pk_add_bf16 v90, v74, s[8:9]                 // 000000007DBC: DD488000 00084A5A
	s_setvskip 0, 0                                            // 000000007DC4: BF108080
	s_setvskip s20, 5                                          // 000000007DC8: BF108514
	global_atomic_pk_add_bf16 v90, v75, s[8:9] offset:256      // 000000007DCC: DD488100 00084B5A
	s_setvskip 0, 0                                            // 000000007DD4: BF108080
	s_setvskip s20, 6                                          // 000000007DD8: BF108614
	global_atomic_pk_add_bf16 v92, v76, s[8:9]                 // 000000007DDC: DD488000 00084C5C
	s_setvskip 0, 0                                            // 000000007DE4: BF108080
	s_setvskip s20, 6                                          // 000000007DE8: BF108614
	global_atomic_pk_add_bf16 v92, v77, s[8:9] offset:256      // 000000007DEC: DD488100 00084D5C
	s_setvskip 0, 0                                            // 000000007DF4: BF108080
	s_setvskip s20, 7                                          // 000000007DF8: BF108714
	global_atomic_pk_add_bf16 v94, v78, s[8:9]                 // 000000007DFC: DD488000 00084E5E
	s_setvskip 0, 0                                            // 000000007E04: BF108080
	s_setvskip s20, 7                                          // 000000007E08: BF108714
	global_atomic_pk_add_bf16 v94, v79, s[8:9] offset:256      // 000000007E0C: DD488100 00084F5E
	s_setvskip 0, 0                                            // 000000007E14: BF108080
	s_add_u32 s8, s59, s8                                      // 000000007E18: 8008083B
	s_addc_u32 s9, 0, s9                                       // 000000007E1C: 82090980
	s_addk_i32 s80, 0x100                                      // 000000007E20: B7500100
	s_cmp_lt_i32 s80, s81                                      // 000000007E24: BF045150
	s_cbranch_scc0 label_0BF1                                  // 000000007E28: BF84F7E6
	s_branch label_11DB                                        // 000000007E2C: BF82FDCF

0000000000007e30 <label_140C>:
	s_cmp_ge_u32 s59, 0                                        // 000000007E30: BF09803B
	s_cselect_b32 s59, 0x200, s59                              // 000000007E34: 853B3BFF 00000200
	s_waitcnt lgkmcnt(0)                                       // 000000007E3C: BF8CC07F
	s_barrier                                                  // 000000007E40: BF8A0000
	s_cmp_eq_u32 s64, 0x100                                    // 000000007E44: BF06FF40 00000100
	s_cbranch_scc0 label_1488                                  // 000000007E4C: BF840074
	ds_write_b64 v4, v[128:129] offset:20992                   // 000000007E50: D89A5200 00008004
	ds_write_b64 v4, v[130:131] offset:29696                   // 000000007E58: D89A7400 00008204
	ds_write_b64 v4, v[132:133] offset:23168                   // 000000007E60: D89A5A80 00008404
	ds_write_b64 v4, v[134:135] offset:31872                   // 000000007E68: D89A7C80 00008604
	ds_write_b64 v4, v[136:137] offset:25344                   // 000000007E70: D89A6300 00008804
	ds_write_b64 v4, v[138:139] offset:34048                   // 000000007E78: D89A8500 00008A04
	ds_write_b64 v4, v[140:141] offset:27520                   // 000000007E80: D89A6B80 00008C04
	ds_write_b64 v4, v[142:143] offset:36224                   // 000000007E88: D89A8D80 00008E04
	s_waitcnt lgkmcnt(0)                                       // 000000007E90: BF8CC07F
	s_barrier                                                  // 000000007E94: BF8A0000
	ds_read_b32 v64, v5 offset:20992                           // 000000007E98: D86C5200 40000005
	ds_read_b32 v65, v5 offset:25344                           // 000000007EA0: D86C6300 41000005
	ds_read_b32 v66, v5 offset:21000                           // 000000007EA8: D86C5208 42000005
	ds_read_b32 v67, v5 offset:25352                           // 000000007EB0: D86C6308 43000005
	ds_read_b32 v68, v5 offset:21024                           // 000000007EB8: D86C5220 44000005
	ds_read_b32 v69, v5 offset:25376                           // 000000007EC0: D86C6320 45000005
	ds_read_b32 v70, v5 offset:21032                           // 000000007EC8: D86C5228 46000005
	ds_read_b32 v71, v5 offset:25384                           // 000000007ED0: D86C6328 47000005
	ds_read_b32 v72, v5 offset:29696                           // 000000007ED8: D86C7400 48000005
	ds_read_b32 v73, v5 offset:34048                           // 000000007EE0: D86C8500 49000005
	ds_read_b32 v74, v5 offset:29704                           // 000000007EE8: D86C7408 4A000005
	ds_read_b32 v75, v5 offset:34056                           // 000000007EF0: D86C8508 4B000005
	ds_read_b32 v76, v5 offset:29728                           // 000000007EF8: D86C7420 4C000005
	ds_read_b32 v77, v5 offset:34080                           // 000000007F00: D86C8520 4D000005
	ds_read_b32 v78, v5 offset:29736                           // 000000007F08: D86C7428 4E000005
	ds_read_b32 v79, v5 offset:34088                           // 000000007F10: D86C8528 4F000005
	s_waitcnt lgkmcnt(0)                                       // 000000007F18: BF8CC07F
	s_setvskip s20, 0                                          // 000000007F1C: BF108014
	global_atomic_pk_add_bf16 v80, v64, s[8:9]                 // 000000007F20: DD488000 00084050
	s_setvskip 0, 0                                            // 000000007F28: BF108080
	s_setvskip s20, 0                                          // 000000007F2C: BF108014
	global_atomic_pk_add_bf16 v80, v65, s[8:9] offset:256      // 000000007F30: DD488100 00084150
	s_setvskip 0, 0                                            // 000000007F38: BF108080
	s_setvskip s20, 1                                          // 000000007F3C: BF108114
	global_atomic_pk_add_bf16 v82, v66, s[8:9]                 // 000000007F40: DD488000 00084252
	s_setvskip 0, 0                                            // 000000007F48: BF108080
	s_setvskip s20, 1                                          // 000000007F4C: BF108114
	global_atomic_pk_add_bf16 v82, v67, s[8:9] offset:256      // 000000007F50: DD488100 00084352
	s_setvskip 0, 0                                            // 000000007F58: BF108080
	s_setvskip s20, 2                                          // 000000007F5C: BF108214
	global_atomic_pk_add_bf16 v84, v68, s[8:9]                 // 000000007F60: DD488000 00084454
	s_setvskip 0, 0                                            // 000000007F68: BF108080
	s_setvskip s20, 2                                          // 000000007F6C: BF108214
	global_atomic_pk_add_bf16 v84, v69, s[8:9] offset:256      // 000000007F70: DD488100 00084554
	s_setvskip 0, 0                                            // 000000007F78: BF108080
	s_setvskip s20, 3                                          // 000000007F7C: BF108314
	global_atomic_pk_add_bf16 v86, v70, s[8:9]                 // 000000007F80: DD488000 00084656
	s_setvskip 0, 0                                            // 000000007F88: BF108080
	s_setvskip s20, 3                                          // 000000007F8C: BF108314
	global_atomic_pk_add_bf16 v86, v71, s[8:9] offset:256      // 000000007F90: DD488100 00084756
	s_setvskip 0, 0                                            // 000000007F98: BF108080
	s_setvskip s20, 4                                          // 000000007F9C: BF108414
	global_atomic_pk_add_bf16 v88, v72, s[8:9]                 // 000000007FA0: DD488000 00084858
	s_setvskip 0, 0                                            // 000000007FA8: BF108080
	s_setvskip s20, 4                                          // 000000007FAC: BF108414
	global_atomic_pk_add_bf16 v88, v73, s[8:9] offset:256      // 000000007FB0: DD488100 00084958
	s_setvskip 0, 0                                            // 000000007FB8: BF108080
	s_setvskip s20, 5                                          // 000000007FBC: BF108514
	global_atomic_pk_add_bf16 v90, v74, s[8:9]                 // 000000007FC0: DD488000 00084A5A
	s_setvskip 0, 0                                            // 000000007FC8: BF108080
	s_setvskip s20, 5                                          // 000000007FCC: BF108514
	global_atomic_pk_add_bf16 v90, v75, s[8:9] offset:256      // 000000007FD0: DD488100 00084B5A
	s_setvskip 0, 0                                            // 000000007FD8: BF108080
	s_setvskip s20, 6                                          // 000000007FDC: BF108614
	global_atomic_pk_add_bf16 v92, v76, s[8:9]                 // 000000007FE0: DD488000 00084C5C
	s_setvskip 0, 0                                            // 000000007FE8: BF108080
	s_setvskip s20, 6                                          // 000000007FEC: BF108614
	global_atomic_pk_add_bf16 v92, v77, s[8:9] offset:256      // 000000007FF0: DD488100 00084D5C
	s_setvskip 0, 0                                            // 000000007FF8: BF108080
	s_setvskip s20, 7                                          // 000000007FFC: BF108714
	global_atomic_pk_add_bf16 v94, v78, s[8:9]                 // 000000008000: DD488000 00084E5E
	s_setvskip 0, 0                                            // 000000008008: BF108080
	s_setvskip s20, 7                                          // 00000000800C: BF108714
	global_atomic_pk_add_bf16 v94, v79, s[8:9] offset:256      // 000000008010: DD488100 00084F5E
	s_setvskip 0, 0                                            // 000000008018: BF108080
	s_branch label_155E                                        // 00000000801C: BF8200D6

0000000000008020 <label_1488>:
	ds_read_b32 v64, v5 offset:20992                           // 000000008020: D86C5200 40000005
	ds_read_b32 v65, v5 offset:25344                           // 000000008028: D86C6300 41000005
	ds_read_b32 v66, v5 offset:21000                           // 000000008030: D86C5208 42000005
	ds_read_b32 v67, v5 offset:25352                           // 000000008038: D86C6308 43000005
	ds_read_b32 v68, v5 offset:21024                           // 000000008040: D86C5220 44000005
	ds_read_b32 v69, v5 offset:25376                           // 000000008048: D86C6320 45000005
	ds_read_b32 v70, v5 offset:21032                           // 000000008050: D86C5228 46000005
	ds_read_b32 v71, v5 offset:25384                           // 000000008058: D86C6328 47000005
	ds_read_b32 v72, v5 offset:29696                           // 000000008060: D86C7400 48000005
	ds_read_b32 v73, v5 offset:34048                           // 000000008068: D86C8500 49000005
	ds_read_b32 v74, v5 offset:29704                           // 000000008070: D86C7408 4A000005
	ds_read_b32 v75, v5 offset:34056                           // 000000008078: D86C8508 4B000005
	ds_read_b32 v76, v5 offset:29728                           // 000000008080: D86C7420 4C000005
	ds_read_b32 v77, v5 offset:34080                           // 000000008088: D86C8520 4D000005
	ds_read_b32 v78, v5 offset:29736                           // 000000008090: D86C7428 4E000005
	ds_read_b32 v79, v5 offset:34088                           // 000000008098: D86C8528 4F000005
	s_waitcnt lgkmcnt(0)                                       // 0000000080A0: BF8CC07F
	s_setvskip s20, 0                                          // 0000000080A4: BF108014
	global_atomic_pk_add_bf16 v80, v64, s[8:9]                 // 0000000080A8: DD488000 00084050
	s_setvskip 0, 0                                            // 0000000080B0: BF108080
	s_setvskip s20, 0                                          // 0000000080B4: BF108014
	global_atomic_pk_add_bf16 v80, v65, s[8:9] offset:256      // 0000000080B8: DD488100 00084150
	s_setvskip 0, 0                                            // 0000000080C0: BF108080
	s_setvskip s20, 1                                          // 0000000080C4: BF108114
	global_atomic_pk_add_bf16 v82, v66, s[8:9]                 // 0000000080C8: DD488000 00084252
	s_setvskip 0, 0                                            // 0000000080D0: BF108080
	s_setvskip s20, 1                                          // 0000000080D4: BF108114
	global_atomic_pk_add_bf16 v82, v67, s[8:9] offset:256      // 0000000080D8: DD488100 00084352
	s_setvskip 0, 0                                            // 0000000080E0: BF108080
	s_setvskip s20, 2                                          // 0000000080E4: BF108214
	global_atomic_pk_add_bf16 v84, v68, s[8:9]                 // 0000000080E8: DD488000 00084454
	s_setvskip 0, 0                                            // 0000000080F0: BF108080
	s_setvskip s20, 2                                          // 0000000080F4: BF108214
	global_atomic_pk_add_bf16 v84, v69, s[8:9] offset:256      // 0000000080F8: DD488100 00084554
	s_setvskip 0, 0                                            // 000000008100: BF108080
	s_setvskip s20, 3                                          // 000000008104: BF108314
	global_atomic_pk_add_bf16 v86, v70, s[8:9]                 // 000000008108: DD488000 00084656
	s_setvskip 0, 0                                            // 000000008110: BF108080
	s_setvskip s20, 3                                          // 000000008114: BF108314
	global_atomic_pk_add_bf16 v86, v71, s[8:9] offset:256      // 000000008118: DD488100 00084756
	s_setvskip 0, 0                                            // 000000008120: BF108080
	s_setvskip s20, 4                                          // 000000008124: BF108414
	global_atomic_pk_add_bf16 v88, v72, s[8:9]                 // 000000008128: DD488000 00084858
	s_setvskip 0, 0                                            // 000000008130: BF108080
	s_setvskip s20, 4                                          // 000000008134: BF108414
	global_atomic_pk_add_bf16 v88, v73, s[8:9] offset:256      // 000000008138: DD488100 00084958
	s_setvskip 0, 0                                            // 000000008140: BF108080
	s_setvskip s20, 5                                          // 000000008144: BF108514
	global_atomic_pk_add_bf16 v90, v74, s[8:9]                 // 000000008148: DD488000 00084A5A
	s_setvskip 0, 0                                            // 000000008150: BF108080
	s_setvskip s20, 5                                          // 000000008154: BF108514
	global_atomic_pk_add_bf16 v90, v75, s[8:9] offset:256      // 000000008158: DD488100 00084B5A
	s_setvskip 0, 0                                            // 000000008160: BF108080
	s_setvskip s20, 6                                          // 000000008164: BF108614
	global_atomic_pk_add_bf16 v92, v76, s[8:9]                 // 000000008168: DD488000 00084C5C
	s_setvskip 0, 0                                            // 000000008170: BF108080
	s_setvskip s20, 6                                          // 000000008174: BF108614
	global_atomic_pk_add_bf16 v92, v77, s[8:9] offset:256      // 000000008178: DD488100 00084D5C
	s_setvskip 0, 0                                            // 000000008180: BF108080
	s_setvskip s20, 7                                          // 000000008184: BF108714
	global_atomic_pk_add_bf16 v94, v78, s[8:9]                 // 000000008188: DD488000 00084E5E
	s_setvskip 0, 0                                            // 000000008190: BF108080
	s_setvskip s20, 7                                          // 000000008194: BF108714
	global_atomic_pk_add_bf16 v94, v79, s[8:9] offset:256      // 000000008198: DD488100 00084F5E
	s_setvskip 0, 0                                            // 0000000081A0: BF108080
	s_add_u32 s8, s59, s8                                      // 0000000081A4: 8008083B
	s_addc_u32 s9, 0, s9                                       // 0000000081A8: 82090980
	ds_write_b64 v4, v[160:161] offset:38400                   // 0000000081AC: D89A9600 0000A004
	ds_write_b64 v4, v[162:163] offset:47104                   // 0000000081B4: D89AB800 0000A204
	ds_write_b64 v4, v[164:165] offset:40576                   // 0000000081BC: D89A9E80 0000A404
	ds_write_b64 v4, v[166:167] offset:49280                   // 0000000081C4: D89AC080 0000A604
	ds_write_b64 v4, v[168:169] offset:42752                   // 0000000081CC: D89AA700 0000A804
	ds_write_b64 v4, v[170:171] offset:51456                   // 0000000081D4: D89AC900 0000AA04
	ds_write_b64 v4, v[172:173] offset:44928                   // 0000000081DC: D89AAF80 0000AC04
	ds_write_b64 v4, v[174:175] offset:53632                   // 0000000081E4: D89AD180 0000AE04
	s_waitcnt lgkmcnt(0)                                       // 0000000081EC: BF8CC07F
	s_barrier                                                  // 0000000081F0: BF8A0000
	ds_read_b32 v64, v5 offset:38400                           // 0000000081F4: D86C9600 40000005
	ds_read_b32 v65, v5 offset:42752                           // 0000000081FC: D86CA700 41000005
	ds_read_b32 v66, v5 offset:38408                           // 000000008204: D86C9608 42000005
	ds_read_b32 v67, v5 offset:42760                           // 00000000820C: D86CA708 43000005
	ds_read_b32 v68, v5 offset:38432                           // 000000008214: D86C9620 44000005
	ds_read_b32 v69, v5 offset:42784                           // 00000000821C: D86CA720 45000005
	ds_read_b32 v70, v5 offset:38440                           // 000000008224: D86C9628 46000005
	ds_read_b32 v71, v5 offset:42792                           // 00000000822C: D86CA728 47000005
	ds_read_b32 v72, v5 offset:47104                           // 000000008234: D86CB800 48000005
	ds_read_b32 v73, v5 offset:51456                           // 00000000823C: D86CC900 49000005
	ds_read_b32 v74, v5 offset:47112                           // 000000008244: D86CB808 4A000005
	ds_read_b32 v75, v5 offset:51464                           // 00000000824C: D86CC908 4B000005
	ds_read_b32 v76, v5 offset:47136                           // 000000008254: D86CB820 4C000005
	ds_read_b32 v77, v5 offset:51488                           // 00000000825C: D86CC920 4D000005
	ds_read_b32 v78, v5 offset:47144                           // 000000008264: D86CB828 4E000005
	ds_read_b32 v79, v5 offset:51496                           // 00000000826C: D86CC928 4F000005
	s_waitcnt lgkmcnt(0)                                       // 000000008274: BF8CC07F
	s_setvskip s20, 0                                          // 000000008278: BF108014
	global_atomic_pk_add_bf16 v80, v64, s[8:9]                 // 00000000827C: DD488000 00084050
	s_setvskip 0, 0                                            // 000000008284: BF108080
	s_setvskip s20, 0                                          // 000000008288: BF108014
	global_atomic_pk_add_bf16 v80, v65, s[8:9] offset:256      // 00000000828C: DD488100 00084150
	s_setvskip 0, 0                                            // 000000008294: BF108080
	s_setvskip s20, 1                                          // 000000008298: BF108114
	global_atomic_pk_add_bf16 v82, v66, s[8:9]                 // 00000000829C: DD488000 00084252
	s_setvskip 0, 0                                            // 0000000082A4: BF108080
	s_setvskip s20, 1                                          // 0000000082A8: BF108114
	global_atomic_pk_add_bf16 v82, v67, s[8:9] offset:256      // 0000000082AC: DD488100 00084352
	s_setvskip 0, 0                                            // 0000000082B4: BF108080
	s_setvskip s20, 2                                          // 0000000082B8: BF108214
	global_atomic_pk_add_bf16 v84, v68, s[8:9]                 // 0000000082BC: DD488000 00084454
	s_setvskip 0, 0                                            // 0000000082C4: BF108080
	s_setvskip s20, 2                                          // 0000000082C8: BF108214
	global_atomic_pk_add_bf16 v84, v69, s[8:9] offset:256      // 0000000082CC: DD488100 00084554
	s_setvskip 0, 0                                            // 0000000082D4: BF108080
	s_setvskip s20, 3                                          // 0000000082D8: BF108314
	global_atomic_pk_add_bf16 v86, v70, s[8:9]                 // 0000000082DC: DD488000 00084656
	s_setvskip 0, 0                                            // 0000000082E4: BF108080
	s_setvskip s20, 3                                          // 0000000082E8: BF108314
	global_atomic_pk_add_bf16 v86, v71, s[8:9] offset:256      // 0000000082EC: DD488100 00084756
	s_setvskip 0, 0                                            // 0000000082F4: BF108080
	s_setvskip s20, 4                                          // 0000000082F8: BF108414
	global_atomic_pk_add_bf16 v88, v72, s[8:9]                 // 0000000082FC: DD488000 00084858
	s_setvskip 0, 0                                            // 000000008304: BF108080
	s_setvskip s20, 4                                          // 000000008308: BF108414
	global_atomic_pk_add_bf16 v88, v73, s[8:9] offset:256      // 00000000830C: DD488100 00084958
	s_setvskip 0, 0                                            // 000000008314: BF108080
	s_setvskip s20, 5                                          // 000000008318: BF108514
	global_atomic_pk_add_bf16 v90, v74, s[8:9]                 // 00000000831C: DD488000 00084A5A
	s_setvskip 0, 0                                            // 000000008324: BF108080
	s_setvskip s20, 5                                          // 000000008328: BF108514
	global_atomic_pk_add_bf16 v90, v75, s[8:9] offset:256      // 00000000832C: DD488100 00084B5A
	s_setvskip 0, 0                                            // 000000008334: BF108080
	s_setvskip s20, 6                                          // 000000008338: BF108614
	global_atomic_pk_add_bf16 v92, v76, s[8:9]                 // 00000000833C: DD488000 00084C5C
	s_setvskip 0, 0                                            // 000000008344: BF108080
	s_setvskip s20, 6                                          // 000000008348: BF108614
	global_atomic_pk_add_bf16 v92, v77, s[8:9] offset:256      // 00000000834C: DD488100 00084D5C
	s_setvskip 0, 0                                            // 000000008354: BF108080
	s_setvskip s20, 7                                          // 000000008358: BF108714
	global_atomic_pk_add_bf16 v94, v78, s[8:9]                 // 00000000835C: DD488000 00084E5E
	s_setvskip 0, 0                                            // 000000008364: BF108080
	s_setvskip s20, 7                                          // 000000008368: BF108714
	global_atomic_pk_add_bf16 v94, v79, s[8:9] offset:256      // 00000000836C: DD488100 00084F5E
	s_setvskip 0, 0                                            // 000000008374: BF108080

0000000000008378 <label_155E>:
	s_waitcnt vmcnt(0) expcnt(0) lgkmcnt(0)                    // 000000008378: BF8C0000
	s_add_u32 s100, s100, 1                                    // 00000000837C: 80648164
	s_cmp_eq_u32 s96, 0                                        // 000000008380: BF068060
	s_cbranch_scc0 label_0039                                  // 000000008384: BF84EAD7

0000000000008388 <label_1562>:
	s_waitcnt vmcnt(0) expcnt(0) lgkmcnt(0)                    // 000000008388: BF8C0000
	s_endpgm                                                   // 00000000838C: BF810000
